;; amdgpu-corpus repo=ROCm/rocFFT kind=compiled arch=gfx1030 opt=O3
	.text
	.amdgcn_target "amdgcn-amd-amdhsa--gfx1030"
	.amdhsa_code_object_version 6
	.protected	fft_rtc_back_len1176_factors_2_2_2_3_7_7_wgs_56_tpt_56_halfLds_dp_op_CI_CI_unitstride_sbrr_C2R_dirReg ; -- Begin function fft_rtc_back_len1176_factors_2_2_2_3_7_7_wgs_56_tpt_56_halfLds_dp_op_CI_CI_unitstride_sbrr_C2R_dirReg
	.globl	fft_rtc_back_len1176_factors_2_2_2_3_7_7_wgs_56_tpt_56_halfLds_dp_op_CI_CI_unitstride_sbrr_C2R_dirReg
	.p2align	8
	.type	fft_rtc_back_len1176_factors_2_2_2_3_7_7_wgs_56_tpt_56_halfLds_dp_op_CI_CI_unitstride_sbrr_C2R_dirReg,@function
fft_rtc_back_len1176_factors_2_2_2_3_7_7_wgs_56_tpt_56_halfLds_dp_op_CI_CI_unitstride_sbrr_C2R_dirReg: ; @fft_rtc_back_len1176_factors_2_2_2_3_7_7_wgs_56_tpt_56_halfLds_dp_op_CI_CI_unitstride_sbrr_C2R_dirReg
; %bb.0:
	s_clause 0x2
	s_load_dwordx4 s[12:15], s[4:5], 0x0
	s_load_dwordx4 s[8:11], s[4:5], 0x58
	;; [unrolled: 1-line block ×3, first 2 shown]
	v_mul_u32_u24_e32 v1, 0x493, v0
	v_mov_b32_e32 v3, 0
	v_add_nc_u32_sdwa v5, s6, v1 dst_sel:DWORD dst_unused:UNUSED_PAD src0_sel:DWORD src1_sel:WORD_1
	v_mov_b32_e32 v1, 0
	v_mov_b32_e32 v6, v3
	v_mov_b32_e32 v2, 0
	s_waitcnt lgkmcnt(0)
	v_cmp_lt_u64_e64 s0, s[14:15], 2
	s_and_b32 vcc_lo, exec_lo, s0
	s_cbranch_vccnz .LBB0_8
; %bb.1:
	s_load_dwordx2 s[0:1], s[4:5], 0x10
	v_mov_b32_e32 v1, 0
	v_mov_b32_e32 v2, 0
	s_add_u32 s2, s18, 8
	s_addc_u32 s3, s19, 0
	s_add_u32 s6, s16, 8
	s_addc_u32 s7, s17, 0
	v_mov_b32_e32 v101, v2
	v_mov_b32_e32 v100, v1
	s_mov_b64 s[22:23], 1
	s_waitcnt lgkmcnt(0)
	s_add_u32 s20, s0, 8
	s_addc_u32 s21, s1, 0
.LBB0_2:                                ; =>This Inner Loop Header: Depth=1
	s_load_dwordx2 s[24:25], s[20:21], 0x0
                                        ; implicit-def: $vgpr104_vgpr105
	s_mov_b32 s0, exec_lo
	s_waitcnt lgkmcnt(0)
	v_or_b32_e32 v4, s25, v6
	v_cmpx_ne_u64_e32 0, v[3:4]
	s_xor_b32 s1, exec_lo, s0
	s_cbranch_execz .LBB0_4
; %bb.3:                                ;   in Loop: Header=BB0_2 Depth=1
	v_cvt_f32_u32_e32 v4, s24
	v_cvt_f32_u32_e32 v7, s25
	s_sub_u32 s0, 0, s24
	s_subb_u32 s26, 0, s25
	v_fmac_f32_e32 v4, 0x4f800000, v7
	v_rcp_f32_e32 v4, v4
	v_mul_f32_e32 v4, 0x5f7ffffc, v4
	v_mul_f32_e32 v7, 0x2f800000, v4
	v_trunc_f32_e32 v7, v7
	v_fmac_f32_e32 v4, 0xcf800000, v7
	v_cvt_u32_f32_e32 v7, v7
	v_cvt_u32_f32_e32 v4, v4
	v_mul_lo_u32 v8, s0, v7
	v_mul_hi_u32 v9, s0, v4
	v_mul_lo_u32 v10, s26, v4
	v_add_nc_u32_e32 v8, v9, v8
	v_mul_lo_u32 v9, s0, v4
	v_add_nc_u32_e32 v8, v8, v10
	v_mul_hi_u32 v10, v4, v9
	v_mul_lo_u32 v11, v4, v8
	v_mul_hi_u32 v12, v4, v8
	v_mul_hi_u32 v13, v7, v9
	v_mul_lo_u32 v9, v7, v9
	v_mul_hi_u32 v14, v7, v8
	v_mul_lo_u32 v8, v7, v8
	v_add_co_u32 v10, vcc_lo, v10, v11
	v_add_co_ci_u32_e32 v11, vcc_lo, 0, v12, vcc_lo
	v_add_co_u32 v9, vcc_lo, v10, v9
	v_add_co_ci_u32_e32 v9, vcc_lo, v11, v13, vcc_lo
	v_add_co_ci_u32_e32 v10, vcc_lo, 0, v14, vcc_lo
	v_add_co_u32 v8, vcc_lo, v9, v8
	v_add_co_ci_u32_e32 v9, vcc_lo, 0, v10, vcc_lo
	v_add_co_u32 v4, vcc_lo, v4, v8
	v_add_co_ci_u32_e32 v7, vcc_lo, v7, v9, vcc_lo
	v_mul_hi_u32 v8, s0, v4
	v_mul_lo_u32 v10, s26, v4
	v_mul_lo_u32 v9, s0, v7
	v_add_nc_u32_e32 v8, v8, v9
	v_mul_lo_u32 v9, s0, v4
	v_add_nc_u32_e32 v8, v8, v10
	v_mul_hi_u32 v10, v4, v9
	v_mul_lo_u32 v11, v4, v8
	v_mul_hi_u32 v12, v4, v8
	v_mul_hi_u32 v13, v7, v9
	v_mul_lo_u32 v9, v7, v9
	v_mul_hi_u32 v14, v7, v8
	v_mul_lo_u32 v8, v7, v8
	v_add_co_u32 v10, vcc_lo, v10, v11
	v_add_co_ci_u32_e32 v11, vcc_lo, 0, v12, vcc_lo
	v_add_co_u32 v9, vcc_lo, v10, v9
	v_add_co_ci_u32_e32 v9, vcc_lo, v11, v13, vcc_lo
	v_add_co_ci_u32_e32 v10, vcc_lo, 0, v14, vcc_lo
	v_add_co_u32 v8, vcc_lo, v9, v8
	v_add_co_ci_u32_e32 v9, vcc_lo, 0, v10, vcc_lo
	v_add_co_u32 v4, vcc_lo, v4, v8
	v_add_co_ci_u32_e32 v11, vcc_lo, v7, v9, vcc_lo
	v_mul_hi_u32 v13, v5, v4
	v_mad_u64_u32 v[9:10], null, v6, v4, 0
	v_mad_u64_u32 v[7:8], null, v5, v11, 0
	;; [unrolled: 1-line block ×3, first 2 shown]
	v_add_co_u32 v4, vcc_lo, v13, v7
	v_add_co_ci_u32_e32 v7, vcc_lo, 0, v8, vcc_lo
	v_add_co_u32 v4, vcc_lo, v4, v9
	v_add_co_ci_u32_e32 v4, vcc_lo, v7, v10, vcc_lo
	v_add_co_ci_u32_e32 v7, vcc_lo, 0, v12, vcc_lo
	v_add_co_u32 v4, vcc_lo, v4, v11
	v_add_co_ci_u32_e32 v9, vcc_lo, 0, v7, vcc_lo
	v_mul_lo_u32 v10, s25, v4
	v_mad_u64_u32 v[7:8], null, s24, v4, 0
	v_mul_lo_u32 v11, s24, v9
	v_sub_co_u32 v7, vcc_lo, v5, v7
	v_add3_u32 v8, v8, v11, v10
	v_sub_nc_u32_e32 v10, v6, v8
	v_subrev_co_ci_u32_e64 v10, s0, s25, v10, vcc_lo
	v_add_co_u32 v11, s0, v4, 2
	v_add_co_ci_u32_e64 v12, s0, 0, v9, s0
	v_sub_co_u32 v13, s0, v7, s24
	v_sub_co_ci_u32_e32 v8, vcc_lo, v6, v8, vcc_lo
	v_subrev_co_ci_u32_e64 v10, s0, 0, v10, s0
	v_cmp_le_u32_e32 vcc_lo, s24, v13
	v_cmp_eq_u32_e64 s0, s25, v8
	v_cndmask_b32_e64 v13, 0, -1, vcc_lo
	v_cmp_le_u32_e32 vcc_lo, s25, v10
	v_cndmask_b32_e64 v14, 0, -1, vcc_lo
	v_cmp_le_u32_e32 vcc_lo, s24, v7
	;; [unrolled: 2-line block ×3, first 2 shown]
	v_cndmask_b32_e64 v15, 0, -1, vcc_lo
	v_cmp_eq_u32_e32 vcc_lo, s25, v10
	v_cndmask_b32_e64 v7, v15, v7, s0
	v_cndmask_b32_e32 v10, v14, v13, vcc_lo
	v_add_co_u32 v13, vcc_lo, v4, 1
	v_add_co_ci_u32_e32 v14, vcc_lo, 0, v9, vcc_lo
	v_cmp_ne_u32_e32 vcc_lo, 0, v10
	v_cndmask_b32_e32 v8, v14, v12, vcc_lo
	v_cndmask_b32_e32 v10, v13, v11, vcc_lo
	v_cmp_ne_u32_e32 vcc_lo, 0, v7
	v_cndmask_b32_e32 v105, v9, v8, vcc_lo
	v_cndmask_b32_e32 v104, v4, v10, vcc_lo
.LBB0_4:                                ;   in Loop: Header=BB0_2 Depth=1
	s_andn2_saveexec_b32 s0, s1
	s_cbranch_execz .LBB0_6
; %bb.5:                                ;   in Loop: Header=BB0_2 Depth=1
	v_cvt_f32_u32_e32 v4, s24
	s_sub_i32 s1, 0, s24
	v_mov_b32_e32 v105, v3
	v_rcp_iflag_f32_e32 v4, v4
	v_mul_f32_e32 v4, 0x4f7ffffe, v4
	v_cvt_u32_f32_e32 v4, v4
	v_mul_lo_u32 v7, s1, v4
	v_mul_hi_u32 v7, v4, v7
	v_add_nc_u32_e32 v4, v4, v7
	v_mul_hi_u32 v4, v5, v4
	v_mul_lo_u32 v7, v4, s24
	v_add_nc_u32_e32 v8, 1, v4
	v_sub_nc_u32_e32 v7, v5, v7
	v_subrev_nc_u32_e32 v9, s24, v7
	v_cmp_le_u32_e32 vcc_lo, s24, v7
	v_cndmask_b32_e32 v7, v7, v9, vcc_lo
	v_cndmask_b32_e32 v4, v4, v8, vcc_lo
	v_cmp_le_u32_e32 vcc_lo, s24, v7
	v_add_nc_u32_e32 v8, 1, v4
	v_cndmask_b32_e32 v104, v4, v8, vcc_lo
.LBB0_6:                                ;   in Loop: Header=BB0_2 Depth=1
	s_or_b32 exec_lo, exec_lo, s0
	v_mul_lo_u32 v4, v105, s24
	v_mul_lo_u32 v9, v104, s25
	s_load_dwordx2 s[0:1], s[6:7], 0x0
	v_mad_u64_u32 v[7:8], null, v104, s24, 0
	s_load_dwordx2 s[24:25], s[2:3], 0x0
	s_add_u32 s22, s22, 1
	s_addc_u32 s23, s23, 0
	s_add_u32 s2, s2, 8
	s_addc_u32 s3, s3, 0
	s_add_u32 s6, s6, 8
	v_add3_u32 v4, v8, v9, v4
	v_sub_co_u32 v5, vcc_lo, v5, v7
	s_addc_u32 s7, s7, 0
	s_add_u32 s20, s20, 8
	v_sub_co_ci_u32_e32 v4, vcc_lo, v6, v4, vcc_lo
	s_addc_u32 s21, s21, 0
	s_waitcnt lgkmcnt(0)
	v_mul_lo_u32 v6, s0, v4
	v_mul_lo_u32 v7, s1, v5
	v_mad_u64_u32 v[1:2], null, s0, v5, v[1:2]
	v_mul_lo_u32 v4, s24, v4
	v_mul_lo_u32 v8, s25, v5
	v_mad_u64_u32 v[100:101], null, s24, v5, v[100:101]
	v_cmp_ge_u64_e64 s0, s[22:23], s[14:15]
	v_add3_u32 v2, v7, v2, v6
	v_add3_u32 v101, v8, v101, v4
	s_and_b32 vcc_lo, exec_lo, s0
	s_cbranch_vccnz .LBB0_9
; %bb.7:                                ;   in Loop: Header=BB0_2 Depth=1
	v_mov_b32_e32 v5, v104
	v_mov_b32_e32 v6, v105
	s_branch .LBB0_2
.LBB0_8:
	v_mov_b32_e32 v101, v2
	v_mov_b32_e32 v105, v6
	;; [unrolled: 1-line block ×4, first 2 shown]
.LBB0_9:
	s_load_dwordx2 s[0:1], s[4:5], 0x28
	v_mul_hi_u32 v3, 0x4924925, v0
	s_lshl_b64 s[4:5], s[14:15], 3
                                        ; implicit-def: $vgpr102
	s_add_u32 s2, s18, s4
	s_addc_u32 s3, s19, s5
	s_waitcnt lgkmcnt(0)
	v_cmp_gt_u64_e32 vcc_lo, s[0:1], v[104:105]
	v_cmp_le_u64_e64 s0, s[0:1], v[104:105]
	s_and_saveexec_b32 s1, s0
	s_xor_b32 s0, exec_lo, s1
; %bb.10:
	v_mul_u32_u24_e32 v1, 56, v3
                                        ; implicit-def: $vgpr3
	v_sub_nc_u32_e32 v102, v0, v1
                                        ; implicit-def: $vgpr0
                                        ; implicit-def: $vgpr1_vgpr2
; %bb.11:
	s_or_saveexec_b32 s1, s0
	s_load_dwordx2 s[2:3], s[2:3], 0x0
	s_xor_b32 exec_lo, exec_lo, s1
	s_cbranch_execz .LBB0_15
; %bb.12:
	s_add_u32 s4, s16, s4
	s_addc_u32 s5, s17, s5
	v_mul_u32_u24_e32 v3, 56, v3
	s_load_dwordx2 s[4:5], s[4:5], 0x0
	v_sub_nc_u32_e32 v102, v0, v3
	v_lshlrev_b64 v[0:1], 4, v[1:2]
	v_lshlrev_b32_e32 v86, 4, v102
	s_waitcnt lgkmcnt(0)
	v_mul_lo_u32 v6, s5, v104
	v_mul_lo_u32 v7, s4, v105
	v_mad_u64_u32 v[4:5], null, s4, v104, 0
	v_add3_u32 v5, v5, v7, v6
	v_lshlrev_b64 v[3:4], 4, v[4:5]
	v_add_co_u32 v2, s0, s8, v3
	v_add_co_ci_u32_e64 v3, s0, s9, v4, s0
	v_or_b32_e32 v4, 0x1c00, v86
	v_add_co_u32 v0, s0, v2, v0
	v_add_co_ci_u32_e64 v1, s0, v3, v1, s0
	v_or_b32_e32 v2, 0x3800, v86
	v_add_co_u32 v34, s0, v0, v86
	v_add_co_ci_u32_e64 v35, s0, 0, v1, s0
	v_add_co_u32 v10, s0, v0, v4
	v_add_co_ci_u32_e64 v11, s0, 0, v1, s0
	v_add_co_u32 v14, s0, v0, v2
	v_add_co_ci_u32_e64 v15, s0, 0, v1, s0
	v_add_co_u32 v26, s0, 0x800, v34
	v_add_co_ci_u32_e64 v27, s0, 0, v35, s0
	v_add_co_u32 v36, s0, 0x1000, v34
	v_add_co_ci_u32_e64 v37, s0, 0, v35, s0
	v_add_co_u32 v42, s0, 0x1800, v34
	v_add_co_ci_u32_e64 v43, s0, 0, v35, s0
	v_add_co_u32 v50, s0, 0x2000, v34
	v_add_co_ci_u32_e64 v51, s0, 0, v35, s0
	v_add_co_u32 v58, s0, 0x2800, v34
	v_add_co_ci_u32_e64 v59, s0, 0, v35, s0
	v_add_co_u32 v66, s0, 0x3000, v34
	v_add_co_ci_u32_e64 v67, s0, 0, v35, s0
	v_add_co_u32 v74, s0, 0x3800, v34
	v_add_co_ci_u32_e64 v75, s0, 0, v35, s0
	v_add_co_u32 v82, s0, 0x4000, v34
	v_add_co_ci_u32_e64 v83, s0, 0, v35, s0
	s_clause 0x14
	global_load_dwordx4 v[2:5], v[34:35], off
	global_load_dwordx4 v[6:9], v[34:35], off offset:896
	global_load_dwordx4 v[10:13], v[10:11], off
	global_load_dwordx4 v[14:17], v[14:15], off
	global_load_dwordx4 v[18:21], v[34:35], off offset:1792
	global_load_dwordx4 v[22:25], v[26:27], off offset:640
	;; [unrolled: 1-line block ×17, first 2 shown]
	v_add_nc_u32_e32 v86, 0, v86
	v_cmp_eq_u32_e64 s0, 55, v102
	s_waitcnt vmcnt(20)
	ds_write_b128 v86, v[2:5]
	s_waitcnt vmcnt(19)
	ds_write_b128 v86, v[6:9] offset:896
	s_waitcnt vmcnt(16)
	ds_write_b128 v86, v[18:21] offset:1792
	ds_write_b128 v86, v[10:13] offset:7168
	;; [unrolled: 1-line block ×3, first 2 shown]
	s_waitcnt vmcnt(15)
	ds_write_b128 v86, v[22:25] offset:2688
	s_waitcnt vmcnt(14)
	ds_write_b128 v86, v[26:29] offset:3584
	;; [unrolled: 2-line block ×16, first 2 shown]
	s_and_saveexec_b32 s4, s0
	s_cbranch_execz .LBB0_14
; %bb.13:
	v_add_co_u32 v0, s0, 0x4800, v0
	v_add_co_ci_u32_e64 v1, s0, 0, v1, s0
	v_mov_b32_e32 v4, 0
	v_mov_b32_e32 v102, 55
	global_load_dwordx4 v[0:3], v[0:1], off offset:384
	s_waitcnt vmcnt(0)
	ds_write_b128 v4, v[0:3] offset:18816
.LBB0_14:
	s_or_b32 exec_lo, exec_lo, s4
.LBB0_15:
	s_or_b32 exec_lo, exec_lo, s1
	v_lshlrev_b32_e32 v0, 4, v102
	s_waitcnt lgkmcnt(0)
	s_barrier
	buffer_gl0_inv
	s_add_u32 s1, s12, 0x4960
	v_add_nc_u32_e32 v106, 0, v0
	v_sub_nc_u32_e32 v10, 0, v0
	s_addc_u32 s4, s13, 0
	s_mov_b32 s5, exec_lo
                                        ; implicit-def: $vgpr4_vgpr5
	ds_read_b64 v[6:7], v106
	ds_read_b64 v[8:9], v10 offset:18816
	s_waitcnt lgkmcnt(0)
	v_add_f64 v[0:1], v[6:7], v[8:9]
	v_add_f64 v[2:3], v[6:7], -v[8:9]
	v_cmpx_ne_u32_e32 0, v102
	s_xor_b32 s5, exec_lo, s5
	s_cbranch_execz .LBB0_17
; %bb.16:
	v_mov_b32_e32 v103, 0
	v_add_f64 v[13:14], v[6:7], v[8:9]
	v_add_f64 v[15:16], v[6:7], -v[8:9]
	v_lshlrev_b64 v[0:1], 4, v[102:103]
	v_add_co_u32 v0, s0, s1, v0
	v_add_co_ci_u32_e64 v1, s0, s4, v1, s0
	global_load_dwordx4 v[2:5], v[0:1], off
	ds_read_b64 v[0:1], v10 offset:18824
	ds_read_b64 v[11:12], v106 offset:8
	s_waitcnt lgkmcnt(0)
	v_add_f64 v[6:7], v[0:1], v[11:12]
	v_add_f64 v[0:1], v[11:12], -v[0:1]
	s_waitcnt vmcnt(0)
	v_fma_f64 v[8:9], v[15:16], v[4:5], v[13:14]
	v_fma_f64 v[11:12], -v[15:16], v[4:5], v[13:14]
	v_fma_f64 v[13:14], v[6:7], v[4:5], -v[0:1]
	v_fma_f64 v[4:5], v[6:7], v[4:5], v[0:1]
	v_fma_f64 v[0:1], -v[6:7], v[2:3], v[8:9]
	v_fma_f64 v[6:7], v[6:7], v[2:3], v[11:12]
	v_fma_f64 v[8:9], v[15:16], v[2:3], v[13:14]
	;; [unrolled: 1-line block ×3, first 2 shown]
	v_mov_b32_e32 v4, v102
	v_mov_b32_e32 v5, v103
	ds_write_b128 v10, v[6:9] offset:18816
.LBB0_17:
	s_andn2_saveexec_b32 s0, s5
	s_cbranch_execz .LBB0_19
; %bb.18:
	v_mov_b32_e32 v8, 0
	ds_read_b128 v[4:7], v8 offset:9408
	s_waitcnt lgkmcnt(0)
	v_add_f64 v[11:12], v[4:5], v[4:5]
	v_mul_f64 v[13:14], v[6:7], -2.0
	v_mov_b32_e32 v4, 0
	v_mov_b32_e32 v5, 0
	ds_write_b128 v8, v[11:14] offset:9408
.LBB0_19:
	s_or_b32 exec_lo, exec_lo, s0
	v_lshlrev_b64 v[4:5], 4, v[4:5]
	v_or_b32_e32 v88, 0x1c0, v102
	v_mov_b32_e32 v89, 0
	v_add_co_u32 v4, s0, s1, v4
	v_add_co_ci_u32_e64 v5, s0, s4, v5, s0
	s_clause 0x1
	global_load_dwordx4 v[6:9], v[4:5], off offset:896
	global_load_dwordx4 v[11:14], v[4:5], off offset:1792
	v_add_co_u32 v23, s0, 0x800, v4
	v_add_co_ci_u32_e64 v24, s0, 0, v5, s0
	ds_write_b128 v106, v[0:3]
	global_load_dwordx4 v[15:18], v[23:24], off offset:640
	ds_read_b128 v[0:3], v106 offset:896
	ds_read_b128 v[19:22], v10 offset:17920
	global_load_dwordx4 v[23:26], v[23:24], off offset:1536
	s_waitcnt lgkmcnt(0)
	v_add_f64 v[27:28], v[0:1], v[19:20]
	v_add_f64 v[29:30], v[21:22], v[2:3]
	v_add_f64 v[31:32], v[0:1], -v[19:20]
	v_add_f64 v[0:1], v[2:3], -v[21:22]
	s_waitcnt vmcnt(3)
	v_fma_f64 v[2:3], v[31:32], v[8:9], v[27:28]
	v_fma_f64 v[19:20], v[29:30], v[8:9], v[0:1]
	v_fma_f64 v[21:22], -v[31:32], v[8:9], v[27:28]
	v_fma_f64 v[8:9], v[29:30], v[8:9], -v[0:1]
	v_add_co_u32 v27, s0, 0x1000, v4
	v_add_co_ci_u32_e64 v28, s0, 0, v5, s0
	v_fma_f64 v[0:1], -v[29:30], v[6:7], v[2:3]
	v_fma_f64 v[2:3], v[31:32], v[6:7], v[19:20]
	v_fma_f64 v[19:20], v[29:30], v[6:7], v[21:22]
	;; [unrolled: 1-line block ×3, first 2 shown]
	ds_write_b128 v106, v[0:3] offset:896
	ds_write_b128 v10, v[19:22] offset:17920
	ds_read_b128 v[0:3], v106 offset:1792
	ds_read_b128 v[6:9], v10 offset:17024
	global_load_dwordx4 v[19:22], v[27:28], off offset:384
	s_waitcnt lgkmcnt(0)
	v_add_f64 v[29:30], v[0:1], v[6:7]
	v_add_f64 v[31:32], v[8:9], v[2:3]
	v_add_f64 v[33:34], v[0:1], -v[6:7]
	v_add_f64 v[0:1], v[2:3], -v[8:9]
	s_waitcnt vmcnt(3)
	v_fma_f64 v[2:3], v[33:34], v[13:14], v[29:30]
	v_fma_f64 v[6:7], v[31:32], v[13:14], v[0:1]
	v_fma_f64 v[8:9], -v[33:34], v[13:14], v[29:30]
	v_fma_f64 v[13:14], v[31:32], v[13:14], -v[0:1]
	v_fma_f64 v[0:1], -v[31:32], v[11:12], v[2:3]
	v_fma_f64 v[2:3], v[33:34], v[11:12], v[6:7]
	v_fma_f64 v[6:7], v[31:32], v[11:12], v[8:9]
	;; [unrolled: 1-line block ×3, first 2 shown]
	ds_write_b128 v106, v[0:3] offset:1792
	ds_write_b128 v10, v[6:9] offset:17024
	ds_read_b128 v[0:3], v106 offset:2688
	ds_read_b128 v[6:9], v10 offset:16128
	global_load_dwordx4 v[11:14], v[27:28], off offset:1280
	s_waitcnt lgkmcnt(0)
	v_add_f64 v[27:28], v[0:1], v[6:7]
	v_add_f64 v[29:30], v[8:9], v[2:3]
	v_add_f64 v[31:32], v[0:1], -v[6:7]
	v_add_f64 v[0:1], v[2:3], -v[8:9]
	s_waitcnt vmcnt(3)
	v_fma_f64 v[2:3], v[31:32], v[17:18], v[27:28]
	v_fma_f64 v[6:7], v[29:30], v[17:18], v[0:1]
	v_fma_f64 v[8:9], -v[31:32], v[17:18], v[27:28]
	v_fma_f64 v[17:18], v[29:30], v[17:18], -v[0:1]
	v_add_co_u32 v27, s0, 0x1800, v4
	v_add_co_ci_u32_e64 v28, s0, 0, v5, s0
	v_fma_f64 v[0:1], -v[29:30], v[15:16], v[2:3]
	v_fma_f64 v[2:3], v[31:32], v[15:16], v[6:7]
	v_fma_f64 v[6:7], v[29:30], v[15:16], v[8:9]
	;; [unrolled: 1-line block ×3, first 2 shown]
	ds_write_b128 v106, v[0:3] offset:2688
	ds_write_b128 v10, v[6:9] offset:16128
	ds_read_b128 v[0:3], v106 offset:3584
	ds_read_b128 v[6:9], v10 offset:15232
	global_load_dwordx4 v[15:18], v[27:28], off offset:128
	s_waitcnt lgkmcnt(0)
	v_add_f64 v[29:30], v[0:1], v[6:7]
	v_add_f64 v[31:32], v[8:9], v[2:3]
	v_add_f64 v[33:34], v[0:1], -v[6:7]
	v_add_f64 v[0:1], v[2:3], -v[8:9]
	s_waitcnt vmcnt(3)
	v_fma_f64 v[2:3], v[33:34], v[25:26], v[29:30]
	v_fma_f64 v[6:7], v[31:32], v[25:26], v[0:1]
	v_fma_f64 v[8:9], -v[33:34], v[25:26], v[29:30]
	v_fma_f64 v[25:26], v[31:32], v[25:26], -v[0:1]
	v_fma_f64 v[0:1], -v[31:32], v[23:24], v[2:3]
	v_fma_f64 v[2:3], v[33:34], v[23:24], v[6:7]
	v_fma_f64 v[6:7], v[31:32], v[23:24], v[8:9]
	;; [unrolled: 1-line block ×3, first 2 shown]
	v_lshlrev_b64 v[23:24], 4, v[88:89]
	ds_write_b128 v106, v[0:3] offset:3584
	ds_write_b128 v10, v[6:9] offset:15232
	v_add_co_u32 v23, s0, s1, v23
	v_add_co_ci_u32_e64 v24, s0, s4, v24, s0
	ds_read_b128 v[0:3], v106 offset:4480
	ds_read_b128 v[6:9], v10 offset:14336
	v_cmp_gt_u32_e64 s0, 28, v102
	global_load_dwordx4 v[23:26], v[23:24], off
	s_waitcnt lgkmcnt(0)
	v_add_f64 v[29:30], v[0:1], v[6:7]
	v_add_f64 v[31:32], v[8:9], v[2:3]
	v_add_f64 v[33:34], v[0:1], -v[6:7]
	v_add_f64 v[0:1], v[2:3], -v[8:9]
	s_waitcnt vmcnt(3)
	v_fma_f64 v[2:3], v[33:34], v[21:22], v[29:30]
	v_fma_f64 v[6:7], v[31:32], v[21:22], v[0:1]
	v_fma_f64 v[8:9], -v[33:34], v[21:22], v[29:30]
	v_fma_f64 v[21:22], v[31:32], v[21:22], -v[0:1]
	v_fma_f64 v[0:1], -v[31:32], v[19:20], v[2:3]
	v_fma_f64 v[2:3], v[33:34], v[19:20], v[6:7]
	v_fma_f64 v[6:7], v[31:32], v[19:20], v[8:9]
	;; [unrolled: 1-line block ×3, first 2 shown]
	ds_write_b128 v106, v[0:3] offset:4480
	ds_write_b128 v10, v[6:9] offset:14336
	ds_read_b128 v[0:3], v106 offset:5376
	ds_read_b128 v[6:9], v10 offset:13440
	global_load_dwordx4 v[19:22], v[27:28], off offset:1920
	s_waitcnt lgkmcnt(0)
	v_add_f64 v[27:28], v[0:1], v[6:7]
	v_add_f64 v[29:30], v[8:9], v[2:3]
	v_add_f64 v[31:32], v[0:1], -v[6:7]
	v_add_f64 v[0:1], v[2:3], -v[8:9]
	s_waitcnt vmcnt(3)
	v_fma_f64 v[2:3], v[31:32], v[13:14], v[27:28]
	v_fma_f64 v[6:7], v[29:30], v[13:14], v[0:1]
	v_fma_f64 v[8:9], -v[31:32], v[13:14], v[27:28]
	v_fma_f64 v[13:14], v[29:30], v[13:14], -v[0:1]
	v_fma_f64 v[0:1], -v[29:30], v[11:12], v[2:3]
	v_fma_f64 v[2:3], v[31:32], v[11:12], v[6:7]
	v_fma_f64 v[6:7], v[29:30], v[11:12], v[8:9]
	v_fma_f64 v[8:9], v[31:32], v[11:12], v[13:14]
	ds_write_b128 v106, v[0:3] offset:5376
	ds_write_b128 v10, v[6:9] offset:13440
	ds_read_b128 v[0:3], v106 offset:6272
	ds_read_b128 v[6:9], v10 offset:12544
	s_waitcnt lgkmcnt(0)
	v_add_f64 v[11:12], v[0:1], v[6:7]
	v_add_f64 v[13:14], v[8:9], v[2:3]
	v_add_f64 v[27:28], v[0:1], -v[6:7]
	v_add_f64 v[0:1], v[2:3], -v[8:9]
	s_waitcnt vmcnt(2)
	v_fma_f64 v[2:3], v[27:28], v[17:18], v[11:12]
	v_fma_f64 v[6:7], v[13:14], v[17:18], v[0:1]
	v_fma_f64 v[8:9], -v[27:28], v[17:18], v[11:12]
	v_fma_f64 v[11:12], v[13:14], v[17:18], -v[0:1]
	v_fma_f64 v[0:1], -v[13:14], v[15:16], v[2:3]
	v_fma_f64 v[2:3], v[27:28], v[15:16], v[6:7]
	v_fma_f64 v[6:7], v[13:14], v[15:16], v[8:9]
	v_fma_f64 v[8:9], v[27:28], v[15:16], v[11:12]
	ds_write_b128 v106, v[0:3] offset:6272
	ds_write_b128 v10, v[6:9] offset:12544
	ds_read_b128 v[0:3], v106 offset:7168
	ds_read_b128 v[6:9], v10 offset:11648
	;; [unrolled: 18-line block ×3, first 2 shown]
	s_waitcnt lgkmcnt(0)
	v_add_f64 v[11:12], v[0:1], v[6:7]
	v_add_f64 v[13:14], v[8:9], v[2:3]
	v_add_f64 v[15:16], v[0:1], -v[6:7]
	v_add_f64 v[0:1], v[2:3], -v[8:9]
	s_waitcnt vmcnt(0)
	v_fma_f64 v[2:3], v[15:16], v[21:22], v[11:12]
	v_fma_f64 v[6:7], v[13:14], v[21:22], v[0:1]
	v_fma_f64 v[8:9], -v[15:16], v[21:22], v[11:12]
	v_fma_f64 v[11:12], v[13:14], v[21:22], -v[0:1]
	v_fma_f64 v[0:1], -v[13:14], v[19:20], v[2:3]
	v_fma_f64 v[2:3], v[15:16], v[19:20], v[6:7]
	v_fma_f64 v[6:7], v[13:14], v[19:20], v[8:9]
	;; [unrolled: 1-line block ×3, first 2 shown]
	ds_write_b128 v106, v[0:3] offset:8064
	ds_write_b128 v10, v[6:9] offset:10752
	s_and_saveexec_b32 s4, s0
	s_cbranch_execz .LBB0_21
; %bb.20:
	v_add_co_u32 v0, s1, 0x2000, v4
	v_add_co_ci_u32_e64 v1, s1, 0, v5, s1
	global_load_dwordx4 v[0:3], v[0:1], off offset:768
	ds_read_b128 v[4:7], v106 offset:8960
	ds_read_b128 v[11:14], v10 offset:9856
	s_waitcnt lgkmcnt(0)
	v_add_f64 v[8:9], v[4:5], v[11:12]
	v_add_f64 v[15:16], v[13:14], v[6:7]
	v_add_f64 v[11:12], v[4:5], -v[11:12]
	v_add_f64 v[4:5], v[6:7], -v[13:14]
	s_waitcnt vmcnt(0)
	v_fma_f64 v[6:7], v[11:12], v[2:3], v[8:9]
	v_fma_f64 v[13:14], v[15:16], v[2:3], v[4:5]
	v_fma_f64 v[8:9], -v[11:12], v[2:3], v[8:9]
	v_fma_f64 v[17:18], v[15:16], v[2:3], -v[4:5]
	v_fma_f64 v[2:3], -v[15:16], v[0:1], v[6:7]
	v_fma_f64 v[4:5], v[11:12], v[0:1], v[13:14]
	v_fma_f64 v[6:7], v[15:16], v[0:1], v[8:9]
	;; [unrolled: 1-line block ×3, first 2 shown]
	ds_write_b128 v106, v[2:5] offset:8960
	ds_write_b128 v10, v[6:9] offset:9856
.LBB0_21:
	s_or_b32 exec_lo, exec_lo, s4
	s_waitcnt lgkmcnt(0)
	s_barrier
	buffer_gl0_inv
	s_barrier
	buffer_gl0_inv
	ds_read_b128 v[0:3], v106 offset:9408
	ds_read_b128 v[4:7], v106
	ds_read_b128 v[8:11], v106 offset:896
	ds_read_b128 v[12:15], v106 offset:8960
	;; [unrolled: 1-line block ×20, first 2 shown]
	v_add_nc_u32_e32 v93, 56, v102
	v_lshl_add_u32 v89, v102, 5, 0
	s_waitcnt lgkmcnt(0)
	s_barrier
	buffer_gl0_inv
	v_lshl_add_u32 v90, v93, 5, 0
	v_add_nc_u32_e32 v92, 0x70, v102
	v_add_nc_u32_e32 v97, 0xa8, v102
	v_add_f64 v[0:1], v[4:5], -v[0:1]
	v_add_f64 v[2:3], v[6:7], -v[2:3]
	v_add_nc_u32_e32 v96, 0xe0, v102
	v_add_f64 v[16:17], v[8:9], -v[16:17]
	v_add_f64 v[18:19], v[10:11], -v[18:19]
	;; [unrolled: 1-line block ×15, first 2 shown]
	ds_write_b128 v89, v[0:3] offset:16
	ds_write_b128 v90, v[16:19] offset:16
	v_fma_f64 v[4:5], v[4:5], 2.0, -v[0:1]
	v_fma_f64 v[6:7], v[6:7], 2.0, -v[2:3]
	;; [unrolled: 1-line block ×6, first 2 shown]
	v_add_f64 v[70:71], v[74:75], -v[70:71]
	v_fma_f64 v[16:17], v[28:29], 2.0, -v[32:33]
	v_fma_f64 v[18:19], v[30:31], 2.0, -v[34:35]
	v_add_f64 v[28:29], v[76:77], -v[80:81]
	v_add_f64 v[30:31], v[78:79], -v[82:83]
	v_lshl_add_u32 v91, v92, 5, 0
	v_lshl_add_u32 v80, v97, 5, 0
	v_fma_f64 v[40:41], v[40:41], 2.0, -v[36:37]
	v_fma_f64 v[42:43], v[42:43], 2.0, -v[38:39]
	;; [unrolled: 1-line block ×4, first 2 shown]
	v_add_nc_u32_e32 v95, 0x118, v102
	v_add_nc_u32_e32 v94, 0x150, v102
	v_lshl_add_u32 v81, v96, 5, 0
	ds_write_b128 v89, v[4:7]
	v_add_f64 v[4:5], v[12:13], -v[84:85]
	v_add_f64 v[6:7], v[14:15], -v[86:87]
	ds_write_b128 v90, v[8:11]
	ds_write_b128 v91, v[20:23] offset:16
	ds_write_b128 v91, v[24:27]
	ds_write_b128 v80, v[32:35] offset:16
	v_fma_f64 v[8:9], v[56:57], 2.0, -v[52:53]
	v_fma_f64 v[10:11], v[58:59], 2.0, -v[54:55]
	;; [unrolled: 1-line block ×8, first 2 shown]
	v_add_nc_u32_e32 v90, 0x188, v102
	v_add_nc_u32_e32 v91, 0x1f8, v102
	ds_write_b128 v80, v[16:19]
	v_add_nc_u32_e32 v89, 0x230, v102
	v_fma_f64 v[0:1], v[12:13], 2.0, -v[4:5]
	v_fma_f64 v[2:3], v[14:15], 2.0, -v[6:7]
	v_lshl_add_u32 v12, v95, 5, 0
	v_lshl_add_u32 v13, v94, 5, 0
	ds_write_b128 v81, v[40:43]
	ds_write_b128 v81, v[36:39] offset:16
	ds_write_b128 v12, v[44:47]
	ds_write_b128 v12, v[48:51] offset:16
	v_lshl_add_u32 v12, v90, 5, 0
	ds_write_b128 v13, v[8:11]
	v_lshl_add_u32 v8, v88, 5, 0
	v_lshl_add_u32 v9, v91, 5, 0
	ds_write_b128 v13, v[52:55] offset:16
	ds_write_b128 v12, v[20:23]
	ds_write_b128 v12, v[64:67] offset:16
	ds_write_b128 v8, v[24:27]
	;; [unrolled: 2-line block ×3, first 2 shown]
	ds_write_b128 v9, v[28:31] offset:16
	s_and_saveexec_b32 s1, s0
	s_cbranch_execz .LBB0_23
; %bb.22:
	v_lshl_add_u32 v8, v89, 5, 0
	ds_write_b128 v8, v[0:3]
	ds_write_b128 v8, v[4:7] offset:16
.LBB0_23:
	s_or_b32 exec_lo, exec_lo, s1
	s_waitcnt lgkmcnt(0)
	s_barrier
	buffer_gl0_inv
	ds_read_b128 v[8:11], v106
	ds_read_b128 v[12:15], v106 offset:896
	ds_read_b128 v[84:87], v106 offset:9408
	;; [unrolled: 1-line block ×19, first 2 shown]
	v_lshlrev_b32_e32 v113, 1, v102
	v_lshlrev_b32_e32 v112, 1, v93
	;; [unrolled: 1-line block ×10, first 2 shown]
	s_and_saveexec_b32 s1, s0
	s_cbranch_execz .LBB0_25
; %bb.24:
	ds_read_b128 v[0:3], v106 offset:8960
	ds_read_b128 v[4:7], v106 offset:18368
.LBB0_25:
	s_or_b32 exec_lo, exec_lo, s1
	v_and_b32_e32 v88, 1, v102
	v_lshlrev_b32_e32 v114, 1, v89
	v_lshlrev_b32_e32 v90, 4, v88
	v_and_or_b32 v91, 0x7c, v113, v88
	v_and_or_b32 v141, 0xfc, v112, v88
	;; [unrolled: 1-line block ×4, first 2 shown]
	global_load_dwordx4 v[115:118], v90, s[12:13]
	v_and_or_b32 v144, 0x3fc, v109, v88
	v_and_or_b32 v145, 0x2fc, v108, v88
	;; [unrolled: 1-line block ×6, first 2 shown]
	v_lshl_add_u32 v91, v91, 4, 0
	v_lshl_add_u32 v141, v141, 4, 0
	;; [unrolled: 1-line block ×3, first 2 shown]
	s_waitcnt vmcnt(0) lgkmcnt(0)
	s_barrier
	buffer_gl0_inv
	v_lshl_add_u32 v143, v143, 4, 0
	v_lshl_add_u32 v144, v144, 4, 0
	;; [unrolled: 1-line block ×6, first 2 shown]
	v_mul_f64 v[89:90], v[86:87], v[117:118]
	v_mul_f64 v[119:120], v[84:85], v[117:118]
	;; [unrolled: 1-line block ×12, first 2 shown]
	v_fma_f64 v[84:85], v[84:85], v[115:116], v[89:90]
	v_fma_f64 v[86:87], v[86:87], v[115:116], -v[119:120]
	v_mul_f64 v[89:90], v[58:59], v[117:118]
	v_mul_f64 v[119:120], v[56:57], v[117:118]
	v_fma_f64 v[76:77], v[76:77], v[115:116], v[121:122]
	v_fma_f64 v[78:79], v[78:79], v[115:116], -v[123:124]
	v_mul_f64 v[121:122], v[54:55], v[117:118]
	v_mul_f64 v[123:124], v[52:53], v[117:118]
	;; [unrolled: 4-line block ×4, first 2 shown]
	v_fma_f64 v[72:73], v[72:73], v[115:116], v[133:134]
	v_mul_f64 v[133:134], v[6:7], v[117:118]
	v_mul_f64 v[117:118], v[4:5], v[117:118]
	v_fma_f64 v[74:75], v[74:75], v[115:116], -v[135:136]
	v_fma_f64 v[135:136], v[48:49], v[115:116], v[137:138]
	v_fma_f64 v[137:138], v[50:51], v[115:116], -v[139:140]
	v_add_f64 v[48:49], v[8:9], -v[84:85]
	v_add_f64 v[50:51], v[10:11], -v[86:87]
	v_fma_f64 v[89:90], v[56:57], v[115:116], v[89:90]
	v_fma_f64 v[119:120], v[58:59], v[115:116], -v[119:120]
	v_fma_f64 v[121:122], v[52:53], v[115:116], v[121:122]
	v_fma_f64 v[123:124], v[54:55], v[115:116], -v[123:124]
	v_add_f64 v[52:53], v[12:13], -v[76:77]
	v_add_f64 v[54:55], v[14:15], -v[78:79]
	v_fma_f64 v[125:126], v[64:65], v[115:116], v[125:126]
	v_fma_f64 v[127:128], v[66:67], v[115:116], -v[127:128]
	v_add_f64 v[56:57], v[16:17], -v[80:81]
	v_add_f64 v[58:59], v[18:19], -v[82:83]
	v_fma_f64 v[129:130], v[60:61], v[115:116], v[129:130]
	v_fma_f64 v[131:132], v[62:63], v[115:116], -v[131:132]
	v_add_f64 v[60:61], v[20:21], -v[68:69]
	v_fma_f64 v[4:5], v[4:5], v[115:116], v[133:134]
	v_fma_f64 v[6:7], v[6:7], v[115:116], -v[117:118]
	v_add_f64 v[62:63], v[22:23], -v[70:71]
	v_add_f64 v[64:65], v[24:25], -v[72:73]
	v_add_f64 v[66:67], v[26:27], -v[74:75]
	v_add_f64 v[68:69], v[28:29], -v[135:136]
	v_add_f64 v[70:71], v[30:31], -v[137:138]
	v_add_f64 v[72:73], v[32:33], -v[89:90]
	v_add_f64 v[74:75], v[34:35], -v[119:120]
	v_fma_f64 v[8:9], v[8:9], 2.0, -v[48:49]
	v_fma_f64 v[10:11], v[10:11], 2.0, -v[50:51]
	v_add_f64 v[76:77], v[36:37], -v[121:122]
	v_add_f64 v[78:79], v[38:39], -v[123:124]
	v_fma_f64 v[12:13], v[12:13], 2.0, -v[52:53]
	v_fma_f64 v[14:15], v[14:15], 2.0, -v[54:55]
	v_add_f64 v[80:81], v[40:41], -v[125:126]
	v_add_f64 v[82:83], v[42:43], -v[127:128]
	;; [unrolled: 4-line block ×3, first 2 shown]
	v_fma_f64 v[20:21], v[20:21], 2.0, -v[60:61]
	v_add_f64 v[4:5], v[0:1], -v[4:5]
	v_add_f64 v[6:7], v[2:3], -v[6:7]
	v_fma_f64 v[22:23], v[22:23], 2.0, -v[62:63]
	v_fma_f64 v[24:25], v[24:25], 2.0, -v[64:65]
	v_fma_f64 v[26:27], v[26:27], 2.0, -v[66:67]
	v_fma_f64 v[28:29], v[28:29], 2.0, -v[68:69]
	v_fma_f64 v[30:31], v[30:31], 2.0, -v[70:71]
	v_fma_f64 v[32:33], v[32:33], 2.0, -v[72:73]
	v_fma_f64 v[34:35], v[34:35], 2.0, -v[74:75]
	v_lshl_add_u32 v89, v149, 4, 0
	v_fma_f64 v[36:37], v[36:37], 2.0, -v[76:77]
	v_fma_f64 v[38:39], v[38:39], 2.0, -v[78:79]
	;; [unrolled: 1-line block ×6, first 2 shown]
	ds_write_b128 v91, v[48:51] offset:32
	ds_write_b128 v91, v[8:11]
	ds_write_b128 v141, v[12:15]
	ds_write_b128 v141, v[52:55] offset:32
	ds_write_b128 v142, v[16:19]
	ds_write_b128 v142, v[56:59] offset:32
	ds_write_b128 v143, v[20:23]
	ds_write_b128 v143, v[60:63] offset:32
	ds_write_b128 v144, v[24:27]
	ds_write_b128 v144, v[64:67] offset:32
	ds_write_b128 v145, v[28:31]
	ds_write_b128 v145, v[68:71] offset:32
	ds_write_b128 v146, v[32:35]
	ds_write_b128 v146, v[72:75] offset:32
	ds_write_b128 v147, v[36:39]
	ds_write_b128 v147, v[76:79] offset:32
	ds_write_b128 v148, v[40:43]
	ds_write_b128 v148, v[80:83] offset:32
	ds_write_b128 v89, v[44:47]
	ds_write_b128 v89, v[84:87] offset:32
	v_fma_f64 v[0:1], v[0:1], 2.0, -v[4:5]
	v_fma_f64 v[2:3], v[2:3], 2.0, -v[6:7]
	s_and_saveexec_b32 s1, s0
	s_cbranch_execz .LBB0_27
; %bb.26:
	v_and_or_b32 v8, 0x4fc, v114, v88
	v_lshl_add_u32 v8, v8, 4, 0
	ds_write_b128 v8, v[0:3]
	ds_write_b128 v8, v[4:7] offset:32
.LBB0_27:
	s_or_b32 exec_lo, exec_lo, s1
	s_waitcnt lgkmcnt(0)
	s_barrier
	buffer_gl0_inv
	ds_read_b128 v[8:11], v106
	ds_read_b128 v[12:15], v106 offset:896
	ds_read_b128 v[52:55], v106 offset:9408
	;; [unrolled: 1-line block ×19, first 2 shown]
	s_and_saveexec_b32 s1, s0
	s_cbranch_execz .LBB0_29
; %bb.28:
	ds_read_b128 v[0:3], v106 offset:8960
	ds_read_b128 v[4:7], v106 offset:18368
.LBB0_29:
	s_or_b32 exec_lo, exec_lo, s1
	v_and_b32_e32 v115, 3, v102
	v_lshlrev_b32_e32 v88, 4, v115
	v_and_or_b32 v152, 0x2f8, v108, v115
	v_and_or_b32 v153, 0x3f8, v107, v115
	v_and_or_b32 v154, 0x3f8, v99, v115
	v_and_or_b32 v155, 0x7f8, v98, v115
	global_load_dwordx4 v[88:91], v88, s[12:13] offset:32
	v_and_or_b32 v148, 0xf8, v112, v115
	v_and_or_b32 v149, 0x1f8, v111, v115
	;; [unrolled: 1-line block ×6, first 2 shown]
	v_lshl_add_u32 v148, v148, 4, 0
	v_lshl_add_u32 v149, v149, 4, 0
	s_waitcnt vmcnt(0) lgkmcnt(0)
	v_lshl_add_u32 v113, v113, 4, 0
	s_barrier
	buffer_gl0_inv
	v_lshl_add_u32 v103, v103, 4, 0
	v_mul_f64 v[98:99], v[54:55], v[90:91]
	v_mul_f64 v[107:108], v[52:53], v[90:91]
	;; [unrolled: 1-line block ×20, first 2 shown]
	v_fma_f64 v[52:53], v[52:53], v[88:89], v[98:99]
	v_fma_f64 v[54:55], v[54:55], v[88:89], -v[107:108]
	v_fma_f64 v[98:99], v[48:49], v[88:89], v[109:110]
	v_fma_f64 v[107:108], v[50:51], v[88:89], -v[111:112]
	;; [unrolled: 2-line block ×10, first 2 shown]
	v_lshl_add_u32 v128, v150, 4, 0
	v_lshl_add_u32 v129, v151, 4, 0
	v_add_f64 v[48:49], v[8:9], -v[52:53]
	v_add_f64 v[50:51], v[10:11], -v[54:55]
	;; [unrolled: 1-line block ×20, first 2 shown]
	v_lshl_add_u32 v98, v152, 4, 0
	v_lshl_add_u32 v99, v153, 4, 0
	v_fma_f64 v[8:9], v[8:9], 2.0, -v[48:49]
	v_fma_f64 v[10:11], v[10:11], 2.0, -v[50:51]
	;; [unrolled: 1-line block ×20, first 2 shown]
	v_lshl_add_u32 v107, v154, 4, 0
	v_lshl_add_u32 v108, v155, 4, 0
	ds_write_b128 v113, v[48:51] offset:64
	ds_write_b128 v113, v[8:11]
	ds_write_b128 v148, v[12:15]
	ds_write_b128 v148, v[52:55] offset:64
	ds_write_b128 v149, v[16:19]
	ds_write_b128 v149, v[56:59] offset:64
	;; [unrolled: 2-line block ×9, first 2 shown]
	s_and_saveexec_b32 s1, s0
	s_cbranch_execz .LBB0_31
; %bb.30:
	v_mul_f64 v[8:9], v[4:5], v[90:91]
	v_mul_f64 v[10:11], v[6:7], v[90:91]
	v_fma_f64 v[6:7], v[6:7], v[88:89], -v[8:9]
	v_fma_f64 v[4:5], v[4:5], v[88:89], v[10:11]
	v_and_or_b32 v8, 0x4f8, v114, v115
	v_lshl_add_u32 v8, v8, 4, 0
	v_add_f64 v[6:7], v[2:3], -v[6:7]
	v_add_f64 v[4:5], v[0:1], -v[4:5]
	v_fma_f64 v[2:3], v[2:3], 2.0, -v[6:7]
	v_fma_f64 v[0:1], v[0:1], 2.0, -v[4:5]
	ds_write_b128 v8, v[0:3]
	ds_write_b128 v8, v[4:7] offset:64
.LBB0_31:
	s_or_b32 exec_lo, exec_lo, s1
	v_and_b32_e32 v98, 7, v102
	s_waitcnt lgkmcnt(0)
	s_barrier
	buffer_gl0_inv
	v_lshrrev_b32_e32 v97, 3, v97
	v_lshlrev_b32_e32 v0, 5, v98
	v_lshrrev_b32_e32 v96, 3, v96
	v_lshrrev_b32_e32 v99, 3, v102
	;; [unrolled: 1-line block ×4, first 2 shown]
	s_clause 0x1
	global_load_dwordx4 v[32:35], v0, s[12:13] offset:96
	global_load_dwordx4 v[28:31], v0, s[12:13] offset:112
	ds_read_b128 v[24:27], v106
	ds_read_b128 v[16:19], v106 offset:896
	ds_read_b128 v[84:87], v106 offset:12544
	;; [unrolled: 1-line block ×20, first 2 shown]
	v_lshrrev_b32_e32 v108, 3, v95
	v_lshrrev_b32_e32 v94, 3, v94
	v_and_b32_e32 v109, 0xff, v102
	v_mul_u32_u24_e32 v97, 24, v97
	v_mul_u32_u24_e32 v96, 24, v96
	v_mul_u32_u24_e32 v99, 24, v99
	v_mul_u32_u24_e32 v103, 24, v103
	v_mul_u32_u24_e32 v107, 24, v107
	v_mul_u32_u24_e32 v108, 24, v108
	v_mul_u32_u24_e32 v110, 24, v94
	v_mul_lo_u16 v94, 0xab, v109
	v_or_b32_e32 v97, v97, v98
	v_or_b32_e32 v96, v96, v98
	;; [unrolled: 1-line block ×7, first 2 shown]
	v_lshrrev_b16 v94, 12, v94
	v_lshl_add_u32 v159, v97, 4, 0
	v_lshl_add_u32 v160, v96, 4, 0
	;; [unrolled: 1-line block ×6, first 2 shown]
	v_mul_lo_u16 v109, v94, 24
	v_lshl_add_u32 v157, v103, 4, 0
	s_mov_b32 s0, 0xe8584caa
	s_mov_b32 s1, 0xbfebb67a
	;; [unrolled: 1-line block ×3, first 2 shown]
	v_sub_nc_u16 v103, v102, v109
	s_mov_b32 s4, s0
	v_mov_b32_e32 v95, 6
	v_and_b32_e32 v155, 0xff, v93
	s_waitcnt vmcnt(0) lgkmcnt(0)
	s_barrier
	buffer_gl0_inv
	v_mul_u32_u24_sdwa v163, v103, v95 dst_sel:DWORD dst_unused:UNUSED_PAD src0_sel:BYTE_0 src1_sel:DWORD
	s_mov_b32 s14, 0x37e14327
	s_mov_b32 s18, 0xe976ee23
	s_mov_b32 s8, 0x429ad128
	s_mov_b32 s15, 0x3fe948f6
	s_mov_b32 s19, 0x3fe11646
	s_mov_b32 s9, 0xbfebfeb5
	s_mov_b32 s16, 0x5476071b
	s_mov_b32 s22, 0xb247c609
	s_mov_b32 s17, 0x3fe77f67
	s_mov_b32 s21, 0xbfe77f67
	s_mov_b32 s23, 0xbfd5d0dc
	s_mov_b32 s25, 0x3fd5d0dc
	s_mov_b32 s20, s16
	s_mov_b32 s24, s22
	s_mov_b32 s6, 0xaaaaaaaa
	s_mov_b32 s7, 0xbff2aaaa
	s_mov_b32 s26, 0x37c3f68c
	s_mov_b32 s27, 0xbfdc38aa
	v_mul_f64 v[96:97], v[90:91], v[34:35]
	v_mul_f64 v[98:99], v[88:89], v[34:35]
	;; [unrolled: 1-line block ×23, first 2 shown]
	v_fma_f64 v[88:89], v[88:89], v[32:33], v[96:97]
	v_mul_f64 v[96:97], v[36:37], v[30:31]
	v_fma_f64 v[90:91], v[90:91], v[32:33], -v[98:99]
	v_mul_f64 v[98:99], v[54:55], v[34:35]
	v_fma_f64 v[84:85], v[84:85], v[28:29], v[107:108]
	v_mul_f64 v[34:35], v[52:53], v[34:35]
	v_mul_f64 v[107:108], v[42:43], v[30:31]
	;; [unrolled: 1-line block ×3, first 2 shown]
	v_fma_f64 v[86:87], v[86:87], v[28:29], -v[109:110]
	v_fma_f64 v[80:81], v[80:81], v[32:33], v[111:112]
	v_fma_f64 v[82:83], v[82:83], v[32:33], -v[113:114]
	v_fma_f64 v[60:61], v[60:61], v[28:29], v[115:116]
	v_fma_f64 v[62:63], v[62:63], v[28:29], -v[117:118]
	v_fma_f64 v[64:65], v[64:65], v[32:33], v[119:120]
	v_fma_f64 v[66:67], v[66:67], v[32:33], -v[121:122]
	v_fma_f64 v[68:69], v[68:69], v[28:29], v[123:124]
	v_fma_f64 v[70:71], v[70:71], v[28:29], -v[125:126]
	v_fma_f64 v[72:73], v[72:73], v[32:33], v[127:128]
	v_fma_f64 v[74:75], v[74:75], v[32:33], -v[129:130]
	v_fma_f64 v[44:45], v[44:45], v[28:29], v[131:132]
	v_fma_f64 v[46:47], v[46:47], v[28:29], -v[133:134]
	v_fma_f64 v[48:49], v[48:49], v[32:33], v[135:136]
	v_fma_f64 v[50:51], v[50:51], v[32:33], -v[137:138]
	v_fma_f64 v[56:57], v[56:57], v[28:29], v[139:140]
	v_fma_f64 v[58:59], v[58:59], v[28:29], -v[141:142]
	v_fma_f64 v[76:77], v[76:77], v[32:33], v[143:144]
	v_fma_f64 v[78:79], v[78:79], v[32:33], -v[145:146]
	v_fma_f64 v[36:37], v[36:37], v[28:29], v[147:148]
	v_fma_f64 v[38:39], v[38:39], v[28:29], -v[96:97]
	v_fma_f64 v[52:53], v[52:53], v[32:33], v[98:99]
	v_fma_f64 v[32:33], v[54:55], v[32:33], -v[34:35]
	v_fma_f64 v[34:35], v[40:41], v[28:29], v[107:108]
	v_fma_f64 v[40:41], v[42:43], v[28:29], -v[30:31]
	v_add_f64 v[28:29], v[24:25], v[88:89]
	v_add_f64 v[42:43], v[88:89], v[84:85]
	v_add_f64 v[54:55], v[90:91], -v[86:87]
	v_add_f64 v[30:31], v[26:27], v[90:91]
	v_add_f64 v[90:91], v[90:91], v[86:87]
	;; [unrolled: 1-line block ×3, first 2 shown]
	v_add_f64 v[107:108], v[82:83], -v[62:63]
	v_add_f64 v[109:110], v[18:19], v[82:83]
	v_add_f64 v[82:83], v[82:83], v[62:63]
	;; [unrolled: 1-line block ×4, first 2 shown]
	v_add_f64 v[115:116], v[66:67], -v[70:71]
	v_add_f64 v[117:118], v[22:23], v[66:67]
	v_add_f64 v[66:67], v[66:67], v[70:71]
	;; [unrolled: 1-line block ×3, first 2 shown]
	v_add_f64 v[123:124], v[74:75], -v[46:47]
	v_add_f64 v[125:126], v[10:11], v[74:75]
	v_add_f64 v[74:75], v[74:75], v[46:47]
	;; [unrolled: 1-line block ×7, first 2 shown]
	v_add_f64 v[88:89], v[88:89], -v[84:85]
	v_add_f64 v[28:29], v[28:29], v[84:85]
	v_add_f64 v[84:85], v[32:33], v[40:41]
	;; [unrolled: 1-line block ×4, first 2 shown]
	v_add_f64 v[151:152], v[32:33], -v[40:41]
	v_fma_f64 v[32:33], v[42:43], -0.5, v[24:25]
	v_fma_f64 v[42:43], v[90:91], -0.5, v[26:27]
	v_add_f64 v[143:144], v[4:5], v[52:53]
	v_add_f64 v[80:81], v[80:81], -v[60:61]
	v_add_f64 v[127:128], v[12:13], v[48:49]
	v_add_f64 v[131:132], v[14:15], v[50:51]
	;; [unrolled: 1-line block ×5, first 2 shown]
	v_add_f64 v[86:87], v[50:51], -v[58:59]
	v_add_f64 v[149:150], v[48:49], -v[56:57]
	v_fma_f64 v[48:49], v[98:99], -0.5, v[16:17]
	v_fma_f64 v[50:51], v[82:83], -0.5, v[18:19]
	v_add_f64 v[64:65], v[64:65], -v[68:69]
	v_add_f64 v[119:120], v[8:9], v[72:73]
	v_add_f64 v[153:154], v[52:53], -v[34:35]
	v_add_f64 v[24:25], v[96:97], v[60:61]
	v_fma_f64 v[52:53], v[113:114], -0.5, v[20:21]
	v_fma_f64 v[60:61], v[66:67], -0.5, v[22:23]
	v_add_f64 v[72:73], v[72:73], -v[44:45]
	v_add_f64 v[26:27], v[109:110], v[62:63]
	v_fma_f64 v[62:63], v[121:122], -0.5, v[8:9]
	v_fma_f64 v[66:67], v[74:75], -0.5, v[10:11]
	v_add_f64 v[16:17], v[111:112], v[68:69]
	v_add_f64 v[18:19], v[117:118], v[70:71]
	v_fma_f64 v[68:69], v[129:130], -0.5, v[12:13]
	v_fma_f64 v[70:71], v[133:134], -0.5, v[14:15]
	v_add_f64 v[78:79], v[78:79], -v[38:39]
	v_add_f64 v[76:77], v[76:77], -v[36:37]
	v_fma_f64 v[74:75], v[137:138], -0.5, v[0:1]
	v_fma_f64 v[82:83], v[141:142], -0.5, v[2:3]
	;; [unrolled: 1-line block ×4, first 2 shown]
	v_fma_f64 v[4:5], v[54:55], s[0:1], v[32:33]
	v_fma_f64 v[6:7], v[88:89], s[4:5], v[42:43]
	v_add_f64 v[0:1], v[143:144], v[34:35]
	v_fma_f64 v[32:33], v[54:55], s[4:5], v[32:33]
	v_fma_f64 v[34:35], v[88:89], s[0:1], v[42:43]
	v_add_f64 v[12:13], v[135:136], v[36:37]
	v_add_f64 v[14:15], v[139:140], v[38:39]
	v_fma_f64 v[36:37], v[107:108], s[0:1], v[48:49]
	v_fma_f64 v[38:39], v[80:81], s[4:5], v[50:51]
	v_add_f64 v[2:3], v[147:148], v[40:41]
	v_fma_f64 v[40:41], v[107:108], s[4:5], v[48:49]
	v_fma_f64 v[42:43], v[80:81], s[0:1], v[50:51]
	v_add_f64 v[20:21], v[119:120], v[44:45]
	v_add_f64 v[22:23], v[125:126], v[46:47]
	v_fma_f64 v[44:45], v[115:116], s[0:1], v[52:53]
	v_fma_f64 v[46:47], v[64:65], s[4:5], v[60:61]
	;; [unrolled: 1-line block ×6, first 2 shown]
	v_add_f64 v[8:9], v[127:128], v[56:57]
	v_add_f64 v[10:11], v[131:132], v[58:59]
	v_fma_f64 v[56:57], v[123:124], s[4:5], v[62:63]
	v_fma_f64 v[58:59], v[72:73], s[0:1], v[66:67]
	;; [unrolled: 1-line block ×12, first 2 shown]
	v_lshlrev_b32_e32 v85, 4, v163
	v_fma_f64 v[76:77], v[151:152], s[0:1], v[90:91]
	v_fma_f64 v[80:81], v[151:152], s[4:5], v[90:91]
	ds_write_b128 v156, v[28:31]
	ds_write_b128 v156, v[4:7] offset:128
	ds_write_b128 v156, v[32:35] offset:256
	ds_write_b128 v157, v[24:27]
	ds_write_b128 v157, v[36:39] offset:128
	ds_write_b128 v157, v[40:43] offset:256
	;; [unrolled: 3-line block ×7, first 2 shown]
	s_waitcnt lgkmcnt(0)
	s_barrier
	buffer_gl0_inv
	s_clause 0x1
	global_load_dwordx4 v[16:19], v85, s[12:13] offset:352
	global_load_dwordx4 v[12:15], v85, s[12:13] offset:368
	v_mul_lo_u16 v0, 0xab, v155
	s_clause 0x2
	global_load_dwordx4 v[8:11], v85, s[12:13] offset:384
	global_load_dwordx4 v[4:7], v85, s[12:13] offset:400
	;; [unrolled: 1-line block ×3, first 2 shown]
	v_and_b32_e32 v20, 0xff, v92
	v_lshrrev_b16 v84, 12, v0
	v_mul_u32_u24_e32 v80, 6, v102
	v_mov_b32_e32 v86, 0xa80
	v_mov_b32_e32 v111, 4
	v_mul_lo_u16 v20, 0xab, v20
	v_mul_lo_u16 v0, v84, 24
	v_lshlrev_b32_e32 v87, 4, v80
	v_mul_u32_u24_sdwa v114, v94, v86 dst_sel:DWORD dst_unused:UNUSED_PAD src0_sel:WORD_0 src1_sel:DWORD
	v_mul_u32_u24_sdwa v112, v84, v86 dst_sel:DWORD dst_unused:UNUSED_PAD src0_sel:WORD_0 src1_sel:DWORD
	s_mov_b32 s4, 0x36b3c0b5
	v_sub_nc_u16 v107, v93, v0
	global_load_dwordx4 v[0:3], v85, s[12:13] offset:416
	v_lshrrev_b16 v85, 12, v20
	v_add_co_u32 v109, s0, s12, v87
	v_mul_u32_u24_sdwa v21, v107, v95 dst_sel:DWORD dst_unused:UNUSED_PAD src0_sel:BYTE_0 src1_sel:DWORD
	s_mov_b32 s5, 0x3fac98ee
	v_mul_lo_u16 v20, v85, 24
	v_mul_u32_u24_sdwa v113, v85, v86 dst_sel:DWORD dst_unused:UNUSED_PAD src0_sel:WORD_0 src1_sel:DWORD
	v_add_co_ci_u32_e64 v110, null, s13, 0, s0
	v_lshlrev_b32_e32 v21, 4, v21
	v_sub_nc_u16 v108, v92, v20
	s_clause 0x3
	global_load_dwordx4 v[56:59], v21, s[12:13] offset:352
	global_load_dwordx4 v[52:55], v21, s[12:13] offset:368
	;; [unrolled: 1-line block ×4, first 2 shown]
	v_mul_u32_u24_sdwa v20, v108, v95 dst_sel:DWORD dst_unused:UNUSED_PAD src0_sel:BYTE_0 src1_sel:DWORD
	global_load_dwordx4 v[24:27], v21, s[12:13] offset:416
	v_lshlrev_b32_e32 v64, 4, v20
	s_clause 0x6
	global_load_dwordx4 v[20:23], v21, s[12:13] offset:432
	global_load_dwordx4 v[48:51], v64, s[12:13] offset:352
	;; [unrolled: 1-line block ×7, first 2 shown]
	ds_read_b128 v[76:79], v106 offset:2688
	ds_read_b128 v[72:75], v106 offset:5376
	;; [unrolled: 1-line block ×12, first 2 shown]
	s_waitcnt vmcnt(17) lgkmcnt(11)
	v_mul_f64 v[135:136], v[78:79], v[18:19]
	v_mul_f64 v[18:19], v[76:77], v[18:19]
	s_waitcnt vmcnt(16) lgkmcnt(10)
	v_mul_f64 v[137:138], v[74:75], v[14:15]
	s_waitcnt vmcnt(15) lgkmcnt(9)
	v_mul_f64 v[141:142], v[82:83], v[10:11]
	v_mul_f64 v[143:144], v[80:81], v[10:11]
	;; [unrolled: 1-line block ×3, first 2 shown]
	s_waitcnt vmcnt(14) lgkmcnt(8)
	v_mul_f64 v[145:146], v[90:91], v[6:7]
	v_mul_f64 v[147:148], v[88:89], v[6:7]
	s_waitcnt vmcnt(13) lgkmcnt(4)
	v_mul_f64 v[155:156], v[117:118], v[62:63]
	v_mul_f64 v[62:63], v[115:116], v[62:63]
	v_add_co_u32 v14, s0, 0x800, v109
	v_add_co_ci_u32_e64 v15, s0, 0, v110, s0
	v_add_co_u32 v6, s0, 0xa60, v109
	v_add_co_ci_u32_e64 v7, s0, 0, v110, s0
	s_waitcnt vmcnt(12)
	v_mul_f64 v[149:150], v[94:95], v[2:3]
	v_mul_f64 v[151:152], v[92:93], v[2:3]
	v_fma_f64 v[135:136], v[76:77], v[16:17], v[135:136]
	v_fma_f64 v[153:154], v[78:79], v[16:17], -v[18:19]
	ds_read_b128 v[16:19], v106 offset:8960
	ds_read_b128 v[76:79], v106 offset:14336
	v_fma_f64 v[141:142], v[80:81], v[8:9], v[141:142]
	v_fma_f64 v[8:9], v[82:83], v[8:9], -v[143:144]
	v_fma_f64 v[137:138], v[72:73], v[12:13], v[137:138]
	v_fma_f64 v[139:140], v[74:75], v[12:13], -v[139:140]
	ds_read_b128 v[10:13], v106 offset:17024
	ds_read_b128 v[80:83], v106 offset:15232
	v_fma_f64 v[88:89], v[88:89], v[4:5], v[145:146]
	ds_read_b128 v[72:75], v106 offset:4480
	s_waitcnt vmcnt(11) lgkmcnt(7)
	v_mul_f64 v[143:144], v[125:126], v[58:59]
	v_mul_f64 v[157:158], v[123:124], v[58:59]
	v_lshlrev_b32_sdwa v58, v111, v103 dst_sel:DWORD dst_unused:UNUSED_PAD src0_sel:DWORD src1_sel:BYTE_0
	v_lshlrev_b32_sdwa v103, v111, v107 dst_sel:DWORD dst_unused:UNUSED_PAD src0_sel:DWORD src1_sel:BYTE_0
	s_waitcnt vmcnt(10)
	v_mul_f64 v[145:146], v[86:87], v[54:55]
	v_mul_f64 v[54:55], v[84:85], v[54:55]
	v_lshlrev_b32_sdwa v111, v111, v108 dst_sel:DWORD dst_unused:UNUSED_PAD src0_sel:DWORD src1_sel:BYTE_0
	v_fma_f64 v[92:93], v[92:93], v[0:1], v[149:150]
	v_fma_f64 v[0:1], v[94:95], v[0:1], -v[151:152]
	s_waitcnt vmcnt(8) lgkmcnt(6)
	v_mul_f64 v[107:108], v[129:130], v[30:31]
	s_waitcnt lgkmcnt(4)
	v_mul_f64 v[94:95], v[18:19], v[42:43]
	v_mul_f64 v[42:43], v[16:17], v[42:43]
	;; [unrolled: 1-line block ×3, first 2 shown]
	v_fma_f64 v[90:91], v[90:91], v[4:5], -v[147:148]
	ds_read_b128 v[2:5], v106 offset:9856
	v_add3_u32 v159, 0, v114, v58
	v_fma_f64 v[114:115], v[115:116], v[60:61], v[155:156]
	v_fma_f64 v[62:63], v[117:118], v[60:61], -v[62:63]
	ds_read_b128 v[58:61], v106 offset:17920
	s_waitcnt vmcnt(7) lgkmcnt(5)
	v_mul_f64 v[116:117], v[78:79], v[26:27]
	v_mul_f64 v[26:27], v[76:77], v[26:27]
	s_waitcnt vmcnt(5) lgkmcnt(2)
	v_mul_f64 v[147:148], v[74:75], v[50:51]
	v_fma_f64 v[123:124], v[123:124], v[56:57], v[143:144]
	v_fma_f64 v[56:57], v[125:126], v[56:57], -v[157:158]
	v_mul_f64 v[125:126], v[12:13], v[22:23]
	v_mul_f64 v[143:144], v[10:11], v[22:23]
	v_fma_f64 v[84:85], v[84:85], v[52:53], v[145:146]
	v_fma_f64 v[52:53], v[86:87], v[52:53], -v[54:55]
	v_mul_f64 v[50:51], v[72:73], v[50:51]
	s_waitcnt vmcnt(4)
	v_mul_f64 v[54:55], v[121:122], v[46:47]
	v_mul_f64 v[46:47], v[119:120], v[46:47]
	s_waitcnt vmcnt(1)
	v_mul_f64 v[145:146], v[82:83], v[70:71]
	v_fma_f64 v[94:95], v[16:17], v[40:41], v[94:95]
	v_fma_f64 v[40:41], v[18:19], v[40:41], -v[42:43]
	s_waitcnt lgkmcnt(1)
	v_mul_f64 v[86:87], v[4:5], v[38:39]
	v_mul_f64 v[38:39], v[2:3], v[38:39]
	;; [unrolled: 1-line block ×4, first 2 shown]
	v_fma_f64 v[107:108], v[127:128], v[28:29], v[107:108]
	v_fma_f64 v[28:29], v[129:130], v[28:29], -v[30:31]
	v_mul_f64 v[30:31], v[80:81], v[70:71]
	s_waitcnt vmcnt(0) lgkmcnt(0)
	v_mul_f64 v[70:71], v[60:61], v[66:67]
	v_mul_f64 v[66:67], v[58:59], v[66:67]
	v_fma_f64 v[76:77], v[76:77], v[24:25], v[116:117]
	v_fma_f64 v[26:27], v[78:79], v[24:25], -v[26:27]
	v_add3_u32 v103, 0, v112, v103
	v_fma_f64 v[10:11], v[10:11], v[20:21], v[125:126]
	v_fma_f64 v[12:13], v[12:13], v[20:21], -v[143:144]
	v_fma_f64 v[20:21], v[72:73], v[48:49], v[147:148]
	v_add_f64 v[72:73], v[88:89], -v[141:142]
	v_fma_f64 v[48:49], v[74:75], v[48:49], -v[50:51]
	v_fma_f64 v[50:51], v[119:120], v[44:45], v[54:55]
	v_fma_f64 v[44:45], v[121:122], v[44:45], -v[46:47]
	v_add_f64 v[46:47], v[135:136], v[114:115]
	v_add_f64 v[54:55], v[153:154], v[62:63]
	v_add3_u32 v155, 0, v113, v111
	v_fma_f64 v[2:3], v[2:3], v[36:37], v[86:87]
	v_fma_f64 v[4:5], v[4:5], v[36:37], -v[38:39]
	v_fma_f64 v[36:37], v[131:132], v[32:33], v[42:43]
	v_fma_f64 v[32:33], v[133:134], v[32:33], -v[34:35]
	v_fma_f64 v[34:35], v[80:81], v[68:69], v[145:146]
	ds_read_b128 v[16:19], v106
	ds_read_b128 v[22:25], v106 offset:896
	v_fma_f64 v[30:31], v[82:83], v[68:69], -v[30:31]
	v_fma_f64 v[38:39], v[58:59], v[64:65], v[70:71]
	v_fma_f64 v[42:43], v[60:61], v[64:65], -v[66:67]
	v_add_f64 v[60:61], v[153:154], -v[62:63]
	v_add_f64 v[62:63], v[137:138], v[92:93]
	v_add_f64 v[64:65], v[139:140], v[0:1]
	;; [unrolled: 1-line block ×4, first 2 shown]
	v_add_f64 v[12:13], v[56:57], -v[12:13]
	v_add_f64 v[56:57], v[84:85], v[76:77]
	v_add_f64 v[80:81], v[52:53], v[26:27]
	v_add_f64 v[58:59], v[135:136], -v[114:115]
	v_add_f64 v[66:67], v[137:138], -v[92:93]
	v_add_f64 v[0:1], v[139:140], -v[0:1]
	v_add_f64 v[68:69], v[141:142], v[88:89]
	v_add_f64 v[70:71], v[8:9], v[90:91]
	v_add_f64 v[8:9], v[90:91], -v[8:9]
	v_add_f64 v[76:77], v[84:85], -v[76:77]
	;; [unrolled: 5-line block ×3, first 2 shown]
	v_add_f64 v[40:41], v[20:21], v[38:39]
	v_add_f64 v[86:87], v[48:49], v[42:43]
	v_add_f64 v[20:21], v[20:21], -v[38:39]
	v_add_f64 v[38:39], v[48:49], -v[42:43]
	v_add_f64 v[42:43], v[50:51], v[34:35]
	v_add_f64 v[48:49], v[44:45], v[30:31]
	v_add_f64 v[34:35], v[50:51], -v[34:35]
	v_add_f64 v[30:31], v[44:45], -v[30:31]
	;; [unrolled: 4-line block ×3, first 2 shown]
	v_add_f64 v[32:33], v[62:63], v[46:47]
	v_add_f64 v[36:37], v[64:65], v[54:55]
	;; [unrolled: 1-line block ×4, first 2 shown]
	v_add_f64 v[10:11], v[123:124], -v[10:11]
	v_add_f64 v[92:93], v[62:63], -v[46:47]
	;; [unrolled: 1-line block ×4, first 2 shown]
	v_add_f64 v[107:108], v[72:73], v[66:67]
	v_add_f64 v[111:112], v[8:9], v[0:1]
	v_add_f64 v[113:114], v[72:73], -v[66:67]
	v_add_f64 v[115:116], v[8:9], -v[0:1]
	;; [unrolled: 1-line block ×8, first 2 shown]
	v_add_f64 v[78:79], v[84:85], v[76:77]
	v_add_f64 v[125:126], v[84:85], -v[76:77]
	v_add_f64 v[127:128], v[28:29], -v[26:27]
	v_add_f64 v[129:130], v[42:43], v[40:41]
	v_add_f64 v[131:132], v[48:49], v[86:87]
	v_add_f64 v[94:95], v[64:65], -v[54:55]
	v_add_f64 v[54:55], v[54:55], -v[70:71]
	v_add_f64 v[32:33], v[68:69], v[32:33]
	v_add_f64 v[36:37], v[70:71], v[36:37]
	v_add_f64 v[64:65], v[70:71], -v[64:65]
	v_add_f64 v[121:122], v[56:57], -v[74:75]
	;; [unrolled: 1-line block ×3, first 2 shown]
	v_add_f64 v[80:81], v[28:29], v[26:27]
	v_add_f64 v[56:57], v[52:53], -v[56:57]
	v_add_f64 v[52:53], v[52:53], v[88:89]
	v_add_f64 v[68:69], v[82:83], v[90:91]
	v_add_f64 v[76:77], v[76:77], -v[10:11]
	v_add_f64 v[26:27], v[26:27], -v[12:13]
	v_add_f64 v[137:138], v[2:3], v[34:35]
	v_add_f64 v[72:73], v[58:59], -v[72:73]
	v_add_f64 v[84:85], v[10:11], -v[84:85]
	;; [unrolled: 1-line block ×10, first 2 shown]
	v_add_f64 v[60:61], v[111:112], v[60:61]
	v_mul_f64 v[46:47], v[46:47], s[14:15]
	v_add_f64 v[70:71], v[78:79], v[10:11]
	v_mul_f64 v[78:79], v[62:63], s[4:5]
	v_mul_f64 v[82:83], v[113:114], s[18:19]
	v_add_f64 v[44:45], v[44:45], v[129:130]
	v_mul_f64 v[90:91], v[66:67], s[8:9]
	v_add_f64 v[50:51], v[50:51], v[131:132]
	v_mul_f64 v[111:112], v[0:1], s[14:15]
	v_mul_f64 v[125:126], v[125:126], s[18:19]
	;; [unrolled: 1-line block ×3, first 2 shown]
	v_add_f64 v[139:140], v[4:5], v[30:31]
	v_add_f64 v[34:35], v[34:35], -v[20:21]
	v_add_f64 v[30:31], v[30:31], -v[38:39]
	;; [unrolled: 1-line block ×3, first 2 shown]
	v_mul_f64 v[54:55], v[54:55], s[14:15]
	v_mul_f64 v[88:89], v[115:116], s[18:19]
	s_waitcnt lgkmcnt(1)
	v_add_f64 v[0:1], v[16:17], v[32:33]
	v_add_f64 v[2:3], v[18:19], v[36:37]
	v_add_f64 v[28:29], v[12:13], -v[28:29]
	v_add_f64 v[58:59], v[107:108], v[58:59]
	v_add_f64 v[12:13], v[80:81], v[12:13]
	v_mul_f64 v[80:81], v[64:65], s[4:5]
	v_mul_f64 v[107:108], v[119:120], s[8:9]
	;; [unrolled: 1-line block ×3, first 2 shown]
	s_waitcnt lgkmcnt(0)
	v_add_f64 v[8:9], v[22:23], v[52:53]
	v_add_f64 v[10:11], v[24:25], v[68:69]
	;; [unrolled: 1-line block ×3, first 2 shown]
	v_mul_f64 v[115:116], v[56:57], s[4:5]
	v_mul_f64 v[129:130], v[74:75], s[4:5]
	v_mul_f64 v[131:132], v[76:77], s[8:9]
	v_mul_f64 v[137:138], v[26:27], s[8:9]
	v_add_f64 v[4:5], v[38:39], -v[4:5]
	v_mul_f64 v[40:41], v[40:41], s[14:15]
	v_mul_f64 v[86:87], v[86:87], s[14:15]
	;; [unrolled: 1-line block ×4, first 2 shown]
	v_fma_f64 v[22:23], v[62:63], s[4:5], v[46:47]
	v_fma_f64 v[24:25], v[92:93], s[16:17], -v[78:79]
	v_fma_f64 v[46:47], v[92:93], s[20:21], -v[46:47]
	;; [unrolled: 1-line block ×3, first 2 shown]
	v_fma_f64 v[78:79], v[72:73], s[22:23], v[82:83]
	v_fma_f64 v[72:73], v[72:73], s[24:25], -v[90:91]
	v_fma_f64 v[56:57], v[56:57], s[4:5], v[111:112]
	v_fma_f64 v[92:93], v[121:122], s[20:21], -v[111:112]
	;; [unrolled: 2-line block ×3, first 2 shown]
	v_add_f64 v[16:17], v[96:97], v[44:45]
	v_add_f64 v[18:19], v[98:99], v[50:51]
	v_mul_f64 v[149:150], v[34:35], s[8:9]
	v_mul_f64 v[151:152], v[30:31], s[8:9]
	v_add_f64 v[38:39], v[139:140], v[38:39]
	v_mul_f64 v[139:140], v[42:43], s[4:5]
	v_mul_f64 v[147:148], v[48:49], s[4:5]
	v_fma_f64 v[62:63], v[64:65], s[4:5], v[54:55]
	v_fma_f64 v[82:83], v[117:118], s[22:23], v[88:89]
	;; [unrolled: 1-line block ×4, first 2 shown]
	v_fma_f64 v[64:65], v[94:95], s[16:17], -v[80:81]
	v_fma_f64 v[54:55], v[94:95], s[20:21], -v[54:55]
	;; [unrolled: 1-line block ×4, first 2 shown]
	v_fma_f64 v[74:75], v[74:75], s[4:5], v[113:114]
	v_fma_f64 v[107:108], v[123:124], s[20:21], -v[113:114]
	v_fma_f64 v[113:114], v[28:29], s[22:23], v[127:128]
	v_fma_f64 v[52:53], v[52:53], s[6:7], v[8:9]
	;; [unrolled: 1-line block ×3, first 2 shown]
	v_fma_f64 v[90:91], v[121:122], s[16:17], -v[115:116]
	v_fma_f64 v[94:95], v[123:124], s[16:17], -v[129:130]
	;; [unrolled: 1-line block ×5, first 2 shown]
	v_fma_f64 v[42:43], v[42:43], s[4:5], v[40:41]
	v_fma_f64 v[48:49], v[48:49], s[4:5], v[86:87]
	v_fma_f64 v[115:116], v[145:146], s[22:23], v[141:142]
	v_fma_f64 v[117:118], v[4:5], s[22:23], v[143:144]
	v_fma_f64 v[78:79], v[58:59], s[26:27], v[78:79]
	v_fma_f64 v[66:67], v[58:59], s[26:27], v[66:67]
	v_fma_f64 v[58:59], v[58:59], s[26:27], v[72:73]
	v_fma_f64 v[72:73], v[70:71], s[26:27], v[111:112]
	v_fma_f64 v[111:112], v[12:13], s[26:27], v[26:27]
	v_fma_f64 v[26:27], v[44:45], s[6:7], v[16:17]
	v_fma_f64 v[44:45], v[50:51], s[6:7], v[18:19]
	v_fma_f64 v[40:41], v[133:134], s[20:21], -v[40:41]
	v_fma_f64 v[86:87], v[135:136], s[20:21], -v[86:87]
	;; [unrolled: 1-line block ×8, first 2 shown]
	v_fma_f64 v[82:83], v[60:61], s[26:27], v[82:83]
	v_add_f64 v[50:51], v[22:23], v[32:33]
	v_add_f64 v[62:63], v[62:63], v[36:37]
	v_fma_f64 v[80:81], v[60:61], s[26:27], v[80:81]
	v_fma_f64 v[60:61], v[60:61], s[26:27], v[88:89]
	v_add_f64 v[46:47], v[46:47], v[32:33]
	v_add_f64 v[54:55], v[54:55], v[36:37]
	;; [unrolled: 1-line block ×4, first 2 shown]
	v_fma_f64 v[88:89], v[12:13], s[26:27], v[113:114]
	v_add_f64 v[64:65], v[56:57], v[52:53]
	v_add_f64 v[74:75], v[74:75], v[68:69]
	v_fma_f64 v[76:77], v[70:71], s[26:27], v[76:77]
	v_fma_f64 v[70:71], v[70:71], s[26:27], v[84:85]
	;; [unrolled: 1-line block ×3, first 2 shown]
	v_add_f64 v[56:57], v[90:91], v[52:53]
	v_add_f64 v[90:91], v[94:95], v[68:69]
	;; [unrolled: 1-line block ×4, first 2 shown]
	v_fma_f64 v[113:114], v[20:21], s[26:27], v[115:116]
	v_fma_f64 v[115:116], v[38:39], s[26:27], v[117:118]
	v_add_f64 v[94:95], v[42:43], v[26:27]
	v_add_f64 v[107:108], v[48:49], v[44:45]
	v_fma_f64 v[119:120], v[20:21], s[26:27], v[119:120]
	v_fma_f64 v[4:5], v[38:39], s[26:27], v[4:5]
	v_add_f64 v[121:122], v[40:41], v[26:27]
	v_add_f64 v[86:87], v[86:87], v[44:45]
	;; [unrolled: 4-line block ×3, first 2 shown]
	v_add_f64 v[20:21], v[82:83], v[50:51]
	v_add_f64 v[22:23], v[62:63], -v[78:79]
	v_add_f64 v[24:25], v[60:61], v[46:47]
	v_add_f64 v[26:27], v[54:55], -v[58:59]
	v_add_f64 v[28:29], v[32:33], -v[80:81]
	v_add_f64 v[30:31], v[66:67], v[36:37]
	v_add_f64 v[32:33], v[80:81], v[32:33]
	v_add_f64 v[34:35], v[36:37], -v[66:67]
	v_add_f64 v[36:37], v[46:47], -v[60:61]
	v_add_f64 v[38:39], v[58:59], v[54:55]
	v_add_f64 v[40:41], v[50:51], -v[82:83]
	v_add_f64 v[42:43], v[78:79], v[62:63]
	v_add_f64 v[44:45], v[88:89], v[64:65]
	v_add_f64 v[46:47], v[74:75], -v[72:73]
	v_add_f64 v[48:49], v[12:13], v[92:93]
	v_add_f64 v[50:51], v[68:69], -v[70:71]
	v_add_f64 v[52:53], v[56:57], -v[111:112]
	v_add_f64 v[54:55], v[76:77], v[90:91]
	v_add_f64 v[56:57], v[111:112], v[56:57]
	v_add_f64 v[58:59], v[90:91], -v[76:77]
	v_add_f64 v[60:61], v[92:93], -v[12:13]
	v_add_f64 v[62:63], v[70:71], v[68:69]
	v_add_f64 v[64:65], v[64:65], -v[88:89]
	v_add_f64 v[66:67], v[72:73], v[74:75]
	;; [unrolled: 12-line block ×3, first 2 shown]
	s_barrier
	buffer_gl0_inv
	ds_write_b128 v159, v[0:3]
	ds_write_b128 v159, v[20:23] offset:384
	ds_write_b128 v159, v[24:27] offset:768
	ds_write_b128 v159, v[28:31] offset:1152
	ds_write_b128 v159, v[32:35] offset:1536
	ds_write_b128 v159, v[36:39] offset:1920
	ds_write_b128 v159, v[40:43] offset:2304
	ds_write_b128 v103, v[8:11]
	ds_write_b128 v103, v[44:47] offset:384
	ds_write_b128 v103, v[48:51] offset:768
	ds_write_b128 v103, v[52:55] offset:1152
	ds_write_b128 v103, v[56:59] offset:1536
	ds_write_b128 v103, v[60:63] offset:1920
	ds_write_b128 v103, v[64:67] offset:2304
	;; [unrolled: 7-line block ×3, first 2 shown]
	s_waitcnt lgkmcnt(0)
	s_barrier
	buffer_gl0_inv
	s_clause 0x3
	global_load_dwordx4 v[36:39], v[14:15], off offset:608
	global_load_dwordx4 v[40:43], v[6:7], off offset:16
	;; [unrolled: 1-line block ×4, first 2 shown]
	v_add_co_u32 v0, s0, 0xaa0, v109
	v_add_co_ci_u32_e64 v1, s0, 0, v110, s0
	v_add_co_u32 v2, s0, 0x1800, v109
	v_add_co_ci_u32_e64 v3, s0, 0, v110, s0
	s_clause 0x1
	global_load_dwordx4 v[52:55], v[14:15], off offset:672
	global_load_dwordx4 v[56:59], v[0:1], off offset:16
	v_add_co_u32 v0, s0, 0x1f60, v109
	v_add_co_ci_u32_e64 v1, s0, 0, v110, s0
	s_clause 0x3
	global_load_dwordx4 v[60:63], v[2:3], off offset:1888
	global_load_dwordx4 v[64:67], v[0:1], off offset:16
	;; [unrolled: 1-line block ×4, first 2 shown]
	v_add_co_u32 v4, s0, 0x1fa0, v109
	v_add_co_ci_u32_e64 v5, s0, 0, v110, s0
	v_add_co_u32 v12, s0, 0x3000, v109
	v_add_co_ci_u32_e64 v13, s0, 0, v110, s0
	v_add_co_u32 v14, s0, 0x3460, v109
	v_add_co_ci_u32_e64 v15, s0, 0, v110, s0
	s_clause 0x5
	global_load_dwordx4 v[0:3], v[2:3], off offset:1952
	global_load_dwordx4 v[4:7], v[4:5], off offset:16
	;; [unrolled: 1-line block ×6, first 2 shown]
	v_add_co_u32 v14, s0, 0x34a0, v109
	v_add_co_ci_u32_e64 v15, s0, 0, v110, s0
	s_clause 0x1
	global_load_dwordx4 v[28:31], v[12:13], off offset:1184
	global_load_dwordx4 v[32:35], v[14:15], off offset:16
	ds_read_b128 v[76:79], v106 offset:2688
	ds_read_b128 v[80:83], v106 offset:5376
	;; [unrolled: 1-line block ×15, first 2 shown]
	s_waitcnt vmcnt(17) lgkmcnt(14)
	v_mul_f64 v[139:140], v[78:79], v[38:39]
	s_waitcnt vmcnt(16) lgkmcnt(13)
	v_mul_f64 v[141:142], v[82:83], v[42:43]
	v_mul_f64 v[38:39], v[76:77], v[38:39]
	s_waitcnt vmcnt(14) lgkmcnt(11)
	v_mul_f64 v[145:146], v[90:91], v[50:51]
	v_mul_f64 v[50:51], v[88:89], v[50:51]
	;; [unrolled: 1-line block ×5, first 2 shown]
	s_waitcnt vmcnt(13) lgkmcnt(10)
	v_mul_f64 v[147:148], v[94:95], v[54:55]
	v_mul_f64 v[54:55], v[92:93], v[54:55]
	s_waitcnt vmcnt(12) lgkmcnt(8)
	v_mul_f64 v[151:152], v[98:99], v[58:59]
	v_mul_f64 v[58:59], v[96:97], v[58:59]
	v_fma_f64 v[139:140], v[76:77], v[36:37], v[139:140]
	v_fma_f64 v[80:81], v[80:81], v[40:41], v[141:142]
	s_waitcnt vmcnt(11) lgkmcnt(6)
	v_mul_f64 v[141:142], v[113:114], v[62:63]
	v_mul_f64 v[62:63], v[111:112], v[62:63]
	v_fma_f64 v[88:89], v[88:89], v[48:49], v[145:146]
	v_fma_f64 v[90:91], v[90:91], v[48:49], -v[50:51]
	s_waitcnt vmcnt(10)
	v_mul_f64 v[48:49], v[109:110], v[66:67]
	v_mul_f64 v[50:51], v[107:108], v[66:67]
	s_waitcnt vmcnt(9) lgkmcnt(3)
	v_mul_f64 v[66:67], v[125:126], v[70:71]
	v_mul_f64 v[70:71], v[123:124], v[70:71]
	v_fma_f64 v[149:150], v[78:79], v[36:37], -v[38:39]
	ds_read_b128 v[36:39], v106 offset:4480
	v_fma_f64 v[82:83], v[82:83], v[40:41], -v[42:43]
	ds_read_b128 v[40:43], v106 offset:9856
	v_fma_f64 v[84:85], v[84:85], v[44:45], v[143:144]
	v_fma_f64 v[86:87], v[86:87], v[44:45], -v[46:47]
	ds_read_b128 v[44:47], v106 offset:15232
	ds_read_b128 v[76:79], v106 offset:17920
	v_fma_f64 v[92:93], v[92:93], v[52:53], v[147:148]
	v_fma_f64 v[94:95], v[94:95], v[52:53], -v[54:55]
	s_waitcnt vmcnt(8)
	v_mul_f64 v[52:53], v[121:122], v[74:75]
	v_mul_f64 v[54:55], v[119:120], v[74:75]
	s_waitcnt vmcnt(7) lgkmcnt(5)
	v_mul_f64 v[74:75], v[133:134], v[2:3]
	v_mul_f64 v[2:3], v[131:132], v[2:3]
	v_fma_f64 v[96:97], v[96:97], v[56:57], v[151:152]
	v_fma_f64 v[56:57], v[98:99], v[56:57], -v[58:59]
	s_waitcnt vmcnt(6)
	v_mul_f64 v[58:59], v[129:130], v[6:7]
	v_mul_f64 v[6:7], v[127:128], v[6:7]
	v_fma_f64 v[111:112], v[111:112], v[60:61], v[141:142]
	v_fma_f64 v[60:61], v[113:114], v[60:61], -v[62:63]
	s_waitcnt vmcnt(4)
	v_mul_f64 v[62:63], v[117:118], v[22:23]
	v_mul_f64 v[22:23], v[115:116], v[22:23]
	s_waitcnt lgkmcnt(3)
	v_mul_f64 v[98:99], v[38:39], v[10:11]
	v_mul_f64 v[10:11], v[36:37], v[10:11]
	s_waitcnt vmcnt(3) lgkmcnt(2)
	v_mul_f64 v[113:114], v[42:43], v[18:19]
	v_mul_f64 v[18:19], v[40:41], v[18:19]
	v_fma_f64 v[107:108], v[107:108], v[64:65], v[48:49]
	v_fma_f64 v[64:65], v[109:110], v[64:65], -v[50:51]
	s_waitcnt vmcnt(2)
	v_mul_f64 v[109:110], v[137:138], v[26:27]
	v_mul_f64 v[26:27], v[135:136], v[26:27]
	s_waitcnt vmcnt(1) lgkmcnt(1)
	v_mul_f64 v[141:142], v[46:47], v[30:31]
	v_mul_f64 v[30:31], v[44:45], v[30:31]
	v_fma_f64 v[66:67], v[123:124], v[68:69], v[66:67]
	v_fma_f64 v[68:69], v[125:126], v[68:69], -v[70:71]
	s_waitcnt vmcnt(0) lgkmcnt(0)
	v_mul_f64 v[70:71], v[78:79], v[34:35]
	v_mul_f64 v[34:35], v[76:77], v[34:35]
	v_fma_f64 v[74:75], v[131:132], v[0:1], v[74:75]
	v_fma_f64 v[0:1], v[133:134], v[0:1], -v[2:3]
	v_fma_f64 v[2:3], v[127:128], v[4:5], v[58:59]
	v_fma_f64 v[4:5], v[129:130], v[4:5], -v[6:7]
	;; [unrolled: 2-line block ×3, first 2 shown]
	v_add_f64 v[58:59], v[84:85], v[88:89]
	ds_read_b128 v[48:51], v106
	ds_read_b128 v[52:55], v106 offset:896
	v_fma_f64 v[6:7], v[36:37], v[8:9], v[98:99]
	v_fma_f64 v[8:9], v[38:39], v[8:9], -v[10:11]
	v_fma_f64 v[10:11], v[115:116], v[20:21], v[62:63]
	v_fma_f64 v[20:21], v[117:118], v[20:21], -v[22:23]
	;; [unrolled: 2-line block ×5, first 2 shown]
	v_add_f64 v[36:37], v[149:150], v[56:57]
	v_add_f64 v[42:43], v[80:81], v[92:93]
	v_fma_f64 v[30:31], v[76:77], v[32:33], v[70:71]
	v_fma_f64 v[32:33], v[78:79], v[32:33], -v[34:35]
	v_add_f64 v[34:35], v[139:140], v[96:97]
	v_add_f64 v[44:45], v[82:83], v[94:95]
	v_add_f64 v[38:39], v[139:140], -v[96:97]
	v_add_f64 v[40:41], v[149:150], -v[56:57]
	;; [unrolled: 1-line block ×4, first 2 shown]
	v_add_f64 v[62:63], v[86:87], v[90:91]
	v_add_f64 v[70:71], v[88:89], -v[84:85]
	v_add_f64 v[76:77], v[90:91], -v[86:87]
	v_add_f64 v[78:79], v[111:112], v[2:3]
	v_add_f64 v[80:81], v[60:61], v[4:5]
	v_add_f64 v[4:5], v[60:61], -v[4:5]
	v_add_f64 v[60:61], v[107:108], v[74:75]
	v_add_f64 v[82:83], v[64:65], v[0:1]
	v_add_f64 v[0:1], v[64:65], -v[0:1]
	v_add_f64 v[84:85], v[68:69], v[72:73]
	v_add_f64 v[68:69], v[72:73], -v[68:69]
	v_add_f64 v[74:75], v[107:108], -v[74:75]
	v_add_f64 v[64:65], v[66:67], v[119:120]
	v_add_f64 v[66:67], v[119:120], -v[66:67]
	v_add_f64 v[72:73], v[6:7], v[30:31]
	v_add_f64 v[86:87], v[8:9], v[32:33]
	v_add_f64 v[6:7], v[6:7], -v[30:31]
	v_add_f64 v[8:9], v[8:9], -v[32:33]
	v_add_f64 v[30:31], v[10:11], v[26:27]
	v_add_f64 v[32:33], v[20:21], v[28:29]
	v_add_f64 v[10:11], v[10:11], -v[26:27]
	;; [unrolled: 4-line block ×6, first 2 shown]
	v_add_f64 v[88:89], v[42:43], -v[34:35]
	v_add_f64 v[34:35], v[34:35], -v[58:59]
	v_add_f64 v[117:118], v[68:69], v[0:1]
	v_add_f64 v[121:122], v[68:69], -v[0:1]
	v_add_f64 v[123:124], v[0:1], -v[4:5]
	v_add_f64 v[0:1], v[30:31], v[72:73]
	v_add_f64 v[125:126], v[32:33], v[86:87]
	v_add_f64 v[36:37], v[36:37], -v[62:63]
	v_add_f64 v[98:99], v[76:77], -v[56:57]
	v_add_f64 v[115:116], v[66:67], v[74:75]
	v_add_f64 v[56:57], v[56:57], -v[40:41]
	v_add_f64 v[22:23], v[58:59], v[22:23]
	v_add_f64 v[24:25], v[62:63], v[24:25]
	v_add_f64 v[42:43], v[58:59], -v[42:43]
	v_add_f64 v[70:71], v[38:39], -v[70:71]
	;; [unrolled: 1-line block ×10, first 2 shown]
	v_add_f64 v[131:132], v[18:19], v[10:11]
	v_add_f64 v[135:136], v[18:19], -v[10:11]
	v_add_f64 v[40:41], v[94:95], v[40:41]
	v_mul_f64 v[58:59], v[44:45], s[4:5]
	v_mul_f64 v[62:63], v[96:97], s[18:19]
	;; [unrolled: 1-line block ×3, first 2 shown]
	v_add_f64 v[64:65], v[64:65], v[107:108]
	v_add_f64 v[84:85], v[84:85], v[109:110]
	v_add_f64 v[74:75], v[74:75], -v[2:3]
	v_add_f64 v[127:128], v[30:31], -v[72:73]
	;; [unrolled: 1-line block ×7, first 2 shown]
	v_add_f64 v[133:134], v[16:17], v[20:21]
	v_add_f64 v[137:138], v[16:17], -v[20:21]
	v_add_f64 v[139:140], v[10:11], -v[6:7]
	v_mul_f64 v[10:11], v[34:35], s[14:15]
	v_add_f64 v[26:27], v[26:27], v[0:1]
	v_add_f64 v[28:29], v[28:29], v[125:126]
	v_add_f64 v[20:21], v[20:21], -v[8:9]
	v_add_f64 v[66:67], v[2:3], -v[66:67]
	v_add_f64 v[38:39], v[92:93], v[38:39]
	v_mul_f64 v[34:35], v[36:37], s[14:15]
	v_mul_f64 v[92:93], v[98:99], s[18:19]
	v_add_f64 v[98:99], v[115:116], v[2:3]
	s_waitcnt lgkmcnt(1)
	v_add_f64 v[0:1], v[48:49], v[22:23]
	v_add_f64 v[2:3], v[50:51], v[24:25]
	v_mul_f64 v[96:97], v[56:57], s[8:9]
	v_mul_f64 v[36:37], v[42:43], s[4:5]
	v_add_f64 v[68:69], v[4:5], -v[68:69]
	v_add_f64 v[18:19], v[6:7], -v[18:19]
	v_add_f64 v[107:108], v[117:118], v[4:5]
	v_mul_f64 v[78:79], v[78:79], s[14:15]
	v_mul_f64 v[80:81], v[80:81], s[14:15]
	v_mul_f64 v[109:110], v[60:61], s[4:5]
	v_mul_f64 v[117:118], v[119:120], s[18:19]
	v_mul_f64 v[119:120], v[121:122], s[18:19]
	v_add_f64 v[125:126], v[131:132], v[6:7]
	v_mul_f64 v[135:136], v[135:136], s[18:19]
	v_fma_f64 v[50:51], v[90:91], s[16:17], -v[58:59]
	v_fma_f64 v[58:59], v[70:71], s[22:23], v[62:63]
	v_fma_f64 v[46:47], v[46:47], s[8:9], -v[62:63]
	v_fma_f64 v[70:71], v[70:71], s[24:25], -v[94:95]
	s_waitcnt lgkmcnt(0)
	v_add_f64 v[4:5], v[52:53], v[64:65]
	v_add_f64 v[6:7], v[54:55], v[84:85]
	v_mul_f64 v[121:122], v[74:75], s[8:9]
	v_mul_f64 v[141:142], v[123:124], s[8:9]
	v_mul_f64 v[115:116], v[82:83], s[4:5]
	v_add_f64 v[16:17], v[8:9], -v[16:17]
	v_add_f64 v[131:132], v[133:134], v[8:9]
	v_mul_f64 v[72:73], v[72:73], s[14:15]
	v_mul_f64 v[86:87], v[86:87], s[14:15]
	;; [unrolled: 1-line block ×3, first 2 shown]
	v_fma_f64 v[42:43], v[42:43], s[4:5], v[10:11]
	v_fma_f64 v[48:49], v[88:89], s[20:21], -v[10:11]
	v_add_f64 v[8:9], v[12:13], v[26:27]
	v_add_f64 v[10:11], v[14:15], v[28:29]
	v_mul_f64 v[145:146], v[139:140], s[8:9]
	v_mul_f64 v[147:148], v[20:21], s[8:9]
	;; [unrolled: 1-line block ×4, first 2 shown]
	v_fma_f64 v[44:45], v[44:45], s[4:5], v[34:35]
	v_fma_f64 v[62:63], v[76:77], s[22:23], v[92:93]
	;; [unrolled: 1-line block ×4, first 2 shown]
	v_fma_f64 v[34:35], v[90:91], s[20:21], -v[34:35]
	v_fma_f64 v[56:57], v[56:57], s[8:9], -v[92:93]
	;; [unrolled: 1-line block ×4, first 2 shown]
	v_fma_f64 v[52:53], v[60:61], s[4:5], v[78:79]
	v_fma_f64 v[54:55], v[82:83], s[4:5], v[80:81]
	v_fma_f64 v[60:61], v[111:112], s[16:17], -v[109:110]
	v_fma_f64 v[88:89], v[66:67], s[22:23], v[117:118]
	v_fma_f64 v[90:91], v[68:69], s[22:23], v[119:120]
	;; [unrolled: 1-line block ×3, first 2 shown]
	v_fma_f64 v[109:110], v[139:140], s[8:9], -v[135:136]
	v_fma_f64 v[58:59], v[38:39], s[26:27], v[58:59]
	v_fma_f64 v[46:47], v[38:39], s[26:27], v[46:47]
	;; [unrolled: 1-line block ×5, first 2 shown]
	v_fma_f64 v[78:79], v[111:112], s[20:21], -v[78:79]
	v_fma_f64 v[80:81], v[113:114], s[20:21], -v[80:81]
	v_fma_f64 v[66:67], v[66:67], s[24:25], -v[121:122]
	v_fma_f64 v[68:69], v[68:69], s[24:25], -v[141:142]
	v_fma_f64 v[82:83], v[113:114], s[16:17], -v[115:116]
	v_fma_f64 v[74:75], v[74:75], s[8:9], -v[117:118]
	v_fma_f64 v[92:93], v[123:124], s[8:9], -v[119:120]
	v_fma_f64 v[12:13], v[30:31], s[4:5], v[72:73]
	v_fma_f64 v[14:15], v[32:33], s[4:5], v[86:87]
	;; [unrolled: 1-line block ×5, first 2 shown]
	v_fma_f64 v[72:73], v[127:128], s[20:21], -v[72:73]
	v_fma_f64 v[86:87], v[129:130], s[20:21], -v[86:87]
	;; [unrolled: 1-line block ×7, first 2 shown]
	v_fma_f64 v[62:63], v[40:41], s[26:27], v[62:63]
	v_add_f64 v[42:43], v[42:43], v[22:23]
	v_add_f64 v[44:45], v[44:45], v[24:25]
	v_fma_f64 v[56:57], v[40:41], s[26:27], v[56:57]
	v_fma_f64 v[40:41], v[40:41], s[26:27], v[76:77]
	v_add_f64 v[48:49], v[48:49], v[22:23]
	v_add_f64 v[34:35], v[34:35], v[24:25]
	;; [unrolled: 1-line block ×4, first 2 shown]
	v_fma_f64 v[76:77], v[98:99], s[26:27], v[88:89]
	v_fma_f64 v[84:85], v[107:108], s[26:27], v[90:91]
	;; [unrolled: 1-line block ×4, first 2 shown]
	v_add_f64 v[109:110], v[52:53], v[64:65]
	v_add_f64 v[111:112], v[54:55], v[70:71]
	v_fma_f64 v[66:67], v[98:99], s[26:27], v[66:67]
	v_fma_f64 v[68:69], v[107:108], s[26:27], v[68:69]
	v_add_f64 v[52:53], v[60:61], v[64:65]
	v_add_f64 v[60:61], v[78:79], v[64:65]
	;; [unrolled: 1-line block ×3, first 2 shown]
	v_fma_f64 v[74:75], v[98:99], s[26:27], v[74:75]
	v_fma_f64 v[88:89], v[107:108], s[26:27], v[92:93]
	v_add_f64 v[54:55], v[82:83], v[70:71]
	v_fma_f64 v[92:93], v[131:132], s[26:27], v[96:97]
	v_add_f64 v[80:81], v[12:13], v[26:27]
	v_add_f64 v[82:83], v[14:15], v[28:29]
	v_fma_f64 v[98:99], v[125:126], s[26:27], v[18:19]
	v_fma_f64 v[107:108], v[131:132], s[26:27], v[16:17]
	v_add_f64 v[115:116], v[72:73], v[26:27]
	v_add_f64 v[86:87], v[86:87], v[28:29]
	v_fma_f64 v[96:97], v[131:132], s[26:27], v[20:21]
	v_add_f64 v[78:79], v[30:31], v[26:27]
	v_add_f64 v[113:114], v[32:33], v[28:29]
	;; [unrolled: 1-line block ×3, first 2 shown]
	v_add_f64 v[14:15], v[44:45], -v[58:59]
	v_add_f64 v[16:17], v[40:41], v[48:49]
	v_add_f64 v[18:19], v[34:35], -v[38:39]
	v_add_f64 v[20:21], v[36:37], -v[56:57]
	v_add_f64 v[22:23], v[46:47], v[50:51]
	v_add_f64 v[24:25], v[56:57], v[36:37]
	v_add_f64 v[26:27], v[50:51], -v[46:47]
	v_add_f64 v[28:29], v[48:49], -v[40:41]
	v_add_f64 v[30:31], v[38:39], v[34:35]
	v_add_f64 v[32:33], v[42:43], -v[62:63]
	v_add_f64 v[34:35], v[58:59], v[44:45]
	v_add_f64 v[36:37], v[84:85], v[109:110]
	v_add_f64 v[38:39], v[111:112], -v[76:77]
	v_add_f64 v[40:41], v[68:69], v[60:61]
	v_add_f64 v[42:43], v[64:65], -v[66:67]
	v_add_f64 v[44:45], v[52:53], -v[88:89]
	v_add_f64 v[46:47], v[74:75], v[54:55]
	v_add_f64 v[48:49], v[88:89], v[52:53]
	v_add_f64 v[50:51], v[54:55], -v[74:75]
	v_add_f64 v[52:53], v[60:61], -v[68:69]
	v_add_f64 v[54:55], v[66:67], v[64:65]
	v_add_f64 v[56:57], v[109:110], -v[84:85]
	v_add_f64 v[58:59], v[76:77], v[111:112]
	v_add_f64 v[60:61], v[92:93], v[80:81]
	v_add_f64 v[62:63], v[82:83], -v[90:91]
	v_add_f64 v[64:65], v[107:108], v[115:116]
	v_add_f64 v[66:67], v[86:87], -v[98:99]
	v_add_f64 v[68:69], v[78:79], -v[96:97]
	v_add_f64 v[70:71], v[94:95], v[113:114]
	v_add_f64 v[72:73], v[96:97], v[78:79]
	v_add_f64 v[74:75], v[113:114], -v[94:95]
	v_add_f64 v[76:77], v[115:116], -v[107:108]
	v_add_f64 v[78:79], v[98:99], v[86:87]
	v_add_f64 v[80:81], v[80:81], -v[92:93]
	v_add_f64 v[82:83], v[90:91], v[82:83]
	s_barrier
	buffer_gl0_inv
	ds_write_b128 v106, v[0:3]
	ds_write_b128 v106, v[4:7] offset:896
	ds_write_b128 v106, v[8:11] offset:1792
	;; [unrolled: 1-line block ×20, first 2 shown]
	s_waitcnt lgkmcnt(0)
	s_barrier
	buffer_gl0_inv
	s_and_saveexec_b32 s0, vcc_lo
	s_cbranch_execz .LBB0_33
; %bb.32:
	v_mul_lo_u32 v2, s3, v104
	v_mul_lo_u32 v3, s2, v105
	v_mad_u64_u32 v[0:1], null, s2, v104, 0
	v_mov_b32_e32 v103, 0
	v_lshlrev_b64 v[8:9], 4, v[100:101]
	v_lshl_add_u32 v28, v102, 4, 0
	v_add_nc_u32_e32 v10, 56, v102
	v_add_nc_u32_e32 v12, 0x70, v102
	v_lshlrev_b64 v[14:15], 4, v[102:103]
	v_add3_u32 v1, v1, v3, v2
	v_mov_b32_e32 v11, v103
	v_mov_b32_e32 v13, v103
	v_add_nc_u32_e32 v22, 0xa8, v102
	v_mov_b32_e32 v23, v103
	v_lshlrev_b64 v[16:17], 4, v[0:1]
	ds_read_b128 v[0:3], v28
	ds_read_b128 v[4:7], v28 offset:896
	v_add_nc_u32_e32 v24, 0xe0, v102
	v_mov_b32_e32 v25, v103
	v_lshlrev_b64 v[22:23], 4, v[22:23]
	v_add_co_u32 v18, vcc_lo, s10, v16
	v_add_co_ci_u32_e32 v19, vcc_lo, s11, v17, vcc_lo
	v_lshlrev_b64 v[16:17], 4, v[10:11]
	v_add_co_u32 v30, vcc_lo, v18, v8
	v_add_co_ci_u32_e32 v31, vcc_lo, v19, v9, vcc_lo
	;; [unrolled: 3-line block ×3, first 2 shown]
	ds_read_b128 v[8:11], v28 offset:1792
	ds_read_b128 v[12:15], v28 offset:2688
	v_add_co_u32 v16, vcc_lo, v30, v16
	v_add_co_ci_u32_e32 v17, vcc_lo, v31, v17, vcc_lo
	v_add_co_u32 v18, vcc_lo, v30, v18
	v_add_co_ci_u32_e32 v19, vcc_lo, v31, v19, vcc_lo
	;; [unrolled: 2-line block ×3, first 2 shown]
	s_waitcnt lgkmcnt(3)
	global_store_dwordx4 v[20:21], v[0:3], off
	s_waitcnt lgkmcnt(2)
	global_store_dwordx4 v[16:17], v[4:7], off
	s_waitcnt lgkmcnt(1)
	global_store_dwordx4 v[18:19], v[8:11], off
	s_waitcnt lgkmcnt(0)
	global_store_dwordx4 v[22:23], v[12:15], off
	v_lshlrev_b64 v[0:1], 4, v[24:25]
	v_add_nc_u32_e32 v8, 0x118, v102
	v_mov_b32_e32 v9, v103
	v_add_nc_u32_e32 v10, 0x150, v102
	v_mov_b32_e32 v11, v103
	v_add_nc_u32_e32 v22, 0x188, v102
	v_add_co_u32 v16, vcc_lo, v30, v0
	v_add_co_ci_u32_e32 v17, vcc_lo, v31, v1, vcc_lo
	ds_read_b128 v[0:3], v28 offset:3584
	ds_read_b128 v[4:7], v28 offset:4480
	v_lshlrev_b64 v[18:19], 4, v[8:9]
	v_lshlrev_b64 v[20:21], 4, v[10:11]
	ds_read_b128 v[8:11], v28 offset:5376
	ds_read_b128 v[12:15], v28 offset:6272
	v_mov_b32_e32 v23, v103
	v_add_nc_u32_e32 v24, 0x1c0, v102
	v_add_co_u32 v18, vcc_lo, v30, v18
	v_lshlrev_b64 v[22:23], 4, v[22:23]
	v_add_co_ci_u32_e32 v19, vcc_lo, v31, v19, vcc_lo
	v_add_co_u32 v20, vcc_lo, v30, v20
	v_add_co_ci_u32_e32 v21, vcc_lo, v31, v21, vcc_lo
	v_add_co_u32 v22, vcc_lo, v30, v22
	v_add_co_ci_u32_e32 v23, vcc_lo, v31, v23, vcc_lo
	s_waitcnt lgkmcnt(3)
	global_store_dwordx4 v[16:17], v[0:3], off
	s_waitcnt lgkmcnt(2)
	global_store_dwordx4 v[18:19], v[4:7], off
	;; [unrolled: 2-line block ×4, first 2 shown]
	v_lshlrev_b64 v[0:1], 4, v[24:25]
	v_add_nc_u32_e32 v8, 0x1f8, v102
	v_mov_b32_e32 v9, v103
	v_add_nc_u32_e32 v10, 0x230, v102
	v_mov_b32_e32 v11, v103
	v_add_nc_u32_e32 v22, 0x268, v102
	v_add_co_u32 v16, vcc_lo, v30, v0
	v_add_co_ci_u32_e32 v17, vcc_lo, v31, v1, vcc_lo
	ds_read_b128 v[0:3], v28 offset:7168
	ds_read_b128 v[4:7], v28 offset:8064
	v_lshlrev_b64 v[18:19], 4, v[8:9]
	v_lshlrev_b64 v[20:21], 4, v[10:11]
	ds_read_b128 v[8:11], v28 offset:8960
	ds_read_b128 v[12:15], v28 offset:9856
	v_mov_b32_e32 v23, v103
	v_add_nc_u32_e32 v24, 0x2a0, v102
	v_add_co_u32 v18, vcc_lo, v30, v18
	v_lshlrev_b64 v[22:23], 4, v[22:23]
	v_add_co_ci_u32_e32 v19, vcc_lo, v31, v19, vcc_lo
	v_add_co_u32 v20, vcc_lo, v30, v20
	v_add_co_ci_u32_e32 v21, vcc_lo, v31, v21, vcc_lo
	v_add_co_u32 v22, vcc_lo, v30, v22
	v_add_co_ci_u32_e32 v23, vcc_lo, v31, v23, vcc_lo
	s_waitcnt lgkmcnt(3)
	global_store_dwordx4 v[16:17], v[0:3], off
	s_waitcnt lgkmcnt(2)
	global_store_dwordx4 v[18:19], v[4:7], off
	;; [unrolled: 2-line block ×4, first 2 shown]
	v_lshlrev_b64 v[0:1], 4, v[24:25]
	v_add_nc_u32_e32 v8, 0x2d8, v102
	v_mov_b32_e32 v9, v103
	v_add_nc_u32_e32 v10, 0x310, v102
	v_mov_b32_e32 v11, v103
	v_add_nc_u32_e32 v22, 0x348, v102
	v_add_co_u32 v16, vcc_lo, v30, v0
	v_add_co_ci_u32_e32 v17, vcc_lo, v31, v1, vcc_lo
	ds_read_b128 v[0:3], v28 offset:10752
	ds_read_b128 v[4:7], v28 offset:11648
	v_lshlrev_b64 v[18:19], 4, v[8:9]
	v_lshlrev_b64 v[20:21], 4, v[10:11]
	ds_read_b128 v[8:11], v28 offset:12544
	ds_read_b128 v[12:15], v28 offset:13440
	v_mov_b32_e32 v23, v103
	v_add_nc_u32_e32 v24, 0x380, v102
	v_add_co_u32 v18, vcc_lo, v30, v18
	v_lshlrev_b64 v[22:23], 4, v[22:23]
	v_add_co_ci_u32_e32 v19, vcc_lo, v31, v19, vcc_lo
	v_add_co_u32 v20, vcc_lo, v30, v20
	v_add_co_ci_u32_e32 v21, vcc_lo, v31, v21, vcc_lo
	v_add_co_u32 v22, vcc_lo, v30, v22
	s_waitcnt lgkmcnt(3)
	global_store_dwordx4 v[16:17], v[0:3], off
	s_waitcnt lgkmcnt(2)
	global_store_dwordx4 v[18:19], v[4:7], off
	v_add_nc_u32_e32 v2, 0x3b8, v102
	v_mov_b32_e32 v3, v103
	v_add_co_ci_u32_e32 v23, vcc_lo, v31, v23, vcc_lo
	v_lshlrev_b64 v[0:1], 4, v[24:25]
	s_waitcnt lgkmcnt(1)
	global_store_dwordx4 v[20:21], v[8:11], off
	s_waitcnt lgkmcnt(0)
	global_store_dwordx4 v[22:23], v[12:15], off
	v_lshlrev_b64 v[8:9], 4, v[2:3]
	v_add_nc_u32_e32 v10, 0x3f0, v102
	v_mov_b32_e32 v11, v103
	v_add_co_u32 v20, vcc_lo, v30, v0
	v_add_co_ci_u32_e32 v21, vcc_lo, v31, v1, vcc_lo
	v_add_co_u32 v22, vcc_lo, v30, v8
	ds_read_b128 v[0:3], v28 offset:14336
	ds_read_b128 v[4:7], v28 offset:15232
	v_add_co_ci_u32_e32 v23, vcc_lo, v31, v9, vcc_lo
	v_lshlrev_b64 v[26:27], 4, v[10:11]
	ds_read_b128 v[8:11], v28 offset:16128
	ds_read_b128 v[12:15], v28 offset:17024
	;; [unrolled: 1-line block ×3, first 2 shown]
	v_add_nc_u32_e32 v24, 0x428, v102
	v_add_nc_u32_e32 v102, 0x460, v102
	v_add_co_u32 v26, vcc_lo, v30, v26
	v_lshlrev_b64 v[24:25], 4, v[24:25]
	v_lshlrev_b64 v[28:29], 4, v[102:103]
	v_add_co_ci_u32_e32 v27, vcc_lo, v31, v27, vcc_lo
	v_add_co_u32 v24, vcc_lo, v30, v24
	v_add_co_ci_u32_e32 v25, vcc_lo, v31, v25, vcc_lo
	v_add_co_u32 v28, vcc_lo, v30, v28
	v_add_co_ci_u32_e32 v29, vcc_lo, v31, v29, vcc_lo
	s_waitcnt lgkmcnt(4)
	global_store_dwordx4 v[20:21], v[0:3], off
	s_waitcnt lgkmcnt(3)
	global_store_dwordx4 v[22:23], v[4:7], off
	;; [unrolled: 2-line block ×5, first 2 shown]
.LBB0_33:
	s_endpgm
	.section	.rodata,"a",@progbits
	.p2align	6, 0x0
	.amdhsa_kernel fft_rtc_back_len1176_factors_2_2_2_3_7_7_wgs_56_tpt_56_halfLds_dp_op_CI_CI_unitstride_sbrr_C2R_dirReg
		.amdhsa_group_segment_fixed_size 0
		.amdhsa_private_segment_fixed_size 0
		.amdhsa_kernarg_size 104
		.amdhsa_user_sgpr_count 6
		.amdhsa_user_sgpr_private_segment_buffer 1
		.amdhsa_user_sgpr_dispatch_ptr 0
		.amdhsa_user_sgpr_queue_ptr 0
		.amdhsa_user_sgpr_kernarg_segment_ptr 1
		.amdhsa_user_sgpr_dispatch_id 0
		.amdhsa_user_sgpr_flat_scratch_init 0
		.amdhsa_user_sgpr_private_segment_size 0
		.amdhsa_wavefront_size32 1
		.amdhsa_uses_dynamic_stack 0
		.amdhsa_system_sgpr_private_segment_wavefront_offset 0
		.amdhsa_system_sgpr_workgroup_id_x 1
		.amdhsa_system_sgpr_workgroup_id_y 0
		.amdhsa_system_sgpr_workgroup_id_z 0
		.amdhsa_system_sgpr_workgroup_info 0
		.amdhsa_system_vgpr_workitem_id 0
		.amdhsa_next_free_vgpr 164
		.amdhsa_next_free_sgpr 28
		.amdhsa_reserve_vcc 1
		.amdhsa_reserve_flat_scratch 0
		.amdhsa_float_round_mode_32 0
		.amdhsa_float_round_mode_16_64 0
		.amdhsa_float_denorm_mode_32 3
		.amdhsa_float_denorm_mode_16_64 3
		.amdhsa_dx10_clamp 1
		.amdhsa_ieee_mode 1
		.amdhsa_fp16_overflow 0
		.amdhsa_workgroup_processor_mode 1
		.amdhsa_memory_ordered 1
		.amdhsa_forward_progress 0
		.amdhsa_shared_vgpr_count 0
		.amdhsa_exception_fp_ieee_invalid_op 0
		.amdhsa_exception_fp_denorm_src 0
		.amdhsa_exception_fp_ieee_div_zero 0
		.amdhsa_exception_fp_ieee_overflow 0
		.amdhsa_exception_fp_ieee_underflow 0
		.amdhsa_exception_fp_ieee_inexact 0
		.amdhsa_exception_int_div_zero 0
	.end_amdhsa_kernel
	.text
.Lfunc_end0:
	.size	fft_rtc_back_len1176_factors_2_2_2_3_7_7_wgs_56_tpt_56_halfLds_dp_op_CI_CI_unitstride_sbrr_C2R_dirReg, .Lfunc_end0-fft_rtc_back_len1176_factors_2_2_2_3_7_7_wgs_56_tpt_56_halfLds_dp_op_CI_CI_unitstride_sbrr_C2R_dirReg
                                        ; -- End function
	.section	.AMDGPU.csdata,"",@progbits
; Kernel info:
; codeLenInByte = 17384
; NumSgprs: 30
; NumVgprs: 164
; ScratchSize: 0
; MemoryBound: 0
; FloatMode: 240
; IeeeMode: 1
; LDSByteSize: 0 bytes/workgroup (compile time only)
; SGPRBlocks: 3
; VGPRBlocks: 20
; NumSGPRsForWavesPerEU: 30
; NumVGPRsForWavesPerEU: 164
; Occupancy: 5
; WaveLimiterHint : 1
; COMPUTE_PGM_RSRC2:SCRATCH_EN: 0
; COMPUTE_PGM_RSRC2:USER_SGPR: 6
; COMPUTE_PGM_RSRC2:TRAP_HANDLER: 0
; COMPUTE_PGM_RSRC2:TGID_X_EN: 1
; COMPUTE_PGM_RSRC2:TGID_Y_EN: 0
; COMPUTE_PGM_RSRC2:TGID_Z_EN: 0
; COMPUTE_PGM_RSRC2:TIDIG_COMP_CNT: 0
	.text
	.p2alignl 6, 3214868480
	.fill 48, 4, 3214868480
	.type	__hip_cuid_2fc278203f134d9c,@object ; @__hip_cuid_2fc278203f134d9c
	.section	.bss,"aw",@nobits
	.globl	__hip_cuid_2fc278203f134d9c
__hip_cuid_2fc278203f134d9c:
	.byte	0                               ; 0x0
	.size	__hip_cuid_2fc278203f134d9c, 1

	.ident	"AMD clang version 19.0.0git (https://github.com/RadeonOpenCompute/llvm-project roc-6.4.0 25133 c7fe45cf4b819c5991fe208aaa96edf142730f1d)"
	.section	".note.GNU-stack","",@progbits
	.addrsig
	.addrsig_sym __hip_cuid_2fc278203f134d9c
	.amdgpu_metadata
---
amdhsa.kernels:
  - .args:
      - .actual_access:  read_only
        .address_space:  global
        .offset:         0
        .size:           8
        .value_kind:     global_buffer
      - .offset:         8
        .size:           8
        .value_kind:     by_value
      - .actual_access:  read_only
        .address_space:  global
        .offset:         16
        .size:           8
        .value_kind:     global_buffer
      - .actual_access:  read_only
        .address_space:  global
        .offset:         24
        .size:           8
        .value_kind:     global_buffer
      - .actual_access:  read_only
        .address_space:  global
        .offset:         32
        .size:           8
        .value_kind:     global_buffer
      - .offset:         40
        .size:           8
        .value_kind:     by_value
      - .actual_access:  read_only
        .address_space:  global
        .offset:         48
        .size:           8
        .value_kind:     global_buffer
      - .actual_access:  read_only
        .address_space:  global
        .offset:         56
        .size:           8
        .value_kind:     global_buffer
      - .offset:         64
        .size:           4
        .value_kind:     by_value
      - .actual_access:  read_only
        .address_space:  global
        .offset:         72
        .size:           8
        .value_kind:     global_buffer
      - .actual_access:  read_only
        .address_space:  global
        .offset:         80
        .size:           8
        .value_kind:     global_buffer
      - .actual_access:  read_only
        .address_space:  global
        .offset:         88
        .size:           8
        .value_kind:     global_buffer
      - .actual_access:  write_only
        .address_space:  global
        .offset:         96
        .size:           8
        .value_kind:     global_buffer
    .group_segment_fixed_size: 0
    .kernarg_segment_align: 8
    .kernarg_segment_size: 104
    .language:       OpenCL C
    .language_version:
      - 2
      - 0
    .max_flat_workgroup_size: 56
    .name:           fft_rtc_back_len1176_factors_2_2_2_3_7_7_wgs_56_tpt_56_halfLds_dp_op_CI_CI_unitstride_sbrr_C2R_dirReg
    .private_segment_fixed_size: 0
    .sgpr_count:     30
    .sgpr_spill_count: 0
    .symbol:         fft_rtc_back_len1176_factors_2_2_2_3_7_7_wgs_56_tpt_56_halfLds_dp_op_CI_CI_unitstride_sbrr_C2R_dirReg.kd
    .uniform_work_group_size: 1
    .uses_dynamic_stack: false
    .vgpr_count:     164
    .vgpr_spill_count: 0
    .wavefront_size: 32
    .workgroup_processor_mode: 1
amdhsa.target:   amdgcn-amd-amdhsa--gfx1030
amdhsa.version:
  - 1
  - 2
...

	.end_amdgpu_metadata
